;; amdgpu-corpus repo=vllm-project/vllm kind=triton arch=gfx942 opt=O3 lang=triton
	.amdgcn_target "amdgcn-amd-amdhsa--gfx942"
	.amdhsa_code_object_version 5
	.text
	.globl	_w8a8_block_int8_matmul         ; -- Begin function _w8a8_block_int8_matmul
	.p2align	8
	.type	_w8a8_block_int8_matmul,@function
_w8a8_block_int8_matmul:                ; @_w8a8_block_int8_matmul
.Lfunc_begin0:
	.cfi_sections .debug_frame
	.cfi_startproc
; %bb.263:
	.file	1 "/root/src/amdgpu-assembly/repos/vllm-project__vllm/triton_aot_kernels" "int8_utils_aot.py"
	.loc	1 33 0 prologue_end             ; int8_utils_aot.py:33:0
	s_load_dwordx2 s[2:3], s[0:1], 0x0
	s_load_dwordx8 s[4:11], s[0:1], 0x8
	s_load_dwordx4 s[12:15], s[0:1], 0x28
	s_waitcnt lgkmcnt(0)
	s_branch .LBB0_0
	.loc	1 0 0 is_stmt 0                 ; :0:0
.Ltmp0:
	.p2align	8
; %bb.264:
.LBB0_0:
	s_mov_b64 s[48:49], s[6:7]
.Ltmp1:
	.file	2 "/root/.local/lib/python3.13/site-packages/triton/language" "standard.py"
	.loc	2 43 17 is_stmt 1               ; standard.py:43:17 @[ int8_utils_aot.py:71:27 ]
	s_add_i32 s7, s13, 0x7f
	.loc	2 43 30 is_stmt 0               ; standard.py:43:30 @[ int8_utils_aot.py:71:27 ]
	s_ashr_i32 s17, s7, 31
	s_lshr_b32 s17, s17, 25
	s_add_i32 s7, s7, s17
	s_ashr_i32 s17, s7, 7
.Ltmp2:
	.loc	1 72 38 is_stmt 1               ; int8_utils_aot.py:72:38
	s_lshl_b32 s17, s17, 3
	.loc	1 73 22                         ; int8_utils_aot.py:73:22
	s_abs_i32 s18, s17
	v_cvt_f32_u32_e32 v1, s18
	s_sub_i32 s21, 0, s18
.Ltmp3:
	.loc	2 43 17                         ; standard.py:43:17 @[ int8_utils_aot.py:70:27 ]
	s_add_i32 s6, s12, 63
.Ltmp4:
	.loc	1 73 22                         ; int8_utils_aot.py:73:22
	s_abs_i32 s20, s16
	v_rcp_iflag_f32_e32 v1, v1
.Ltmp5:
	.loc	2 43 30                         ; standard.py:43:30 @[ int8_utils_aot.py:70:27 ]
	s_ashr_i32 s19, s6, 31
	s_lshr_b32 s19, s19, 26
.Ltmp6:
	.loc	1 92 20                         ; int8_utils_aot.py:92:20
	v_readfirstlane_b32 s91, v0
	.loc	1 73 22                         ; int8_utils_aot.py:73:22
	v_mul_f32_e32 v1, 0x4f7ffffe, v1
	v_cvt_u32_f32_e32 v1, v1
.Ltmp7:
	.loc	2 43 30                         ; standard.py:43:30 @[ int8_utils_aot.py:70:27 ]
	s_add_i32 s6, s6, s19
.Ltmp8:
	.loc	1 73 22                         ; int8_utils_aot.py:73:22
	s_ashr_i32 s19, s16, 31
	s_ashr_i32 s7, s7, 31
	v_readfirstlane_b32 s22, v1
	s_mul_i32 s21, s21, s22
	s_mul_hi_u32 s21, s22, s21
	s_add_i32 s22, s22, s21
	s_mul_hi_u32 s21, s20, s22
	s_mul_i32 s22, s21, s18
	s_sub_i32 s22, s20, s22
	.loc	1 114 21                        ; int8_utils_aot.py:114:21
	s_and_b32 s99, s91, 0xc0
.Ltmp9:
	.loc	2 43 30                         ; standard.py:43:30 @[ int8_utils_aot.py:70:27 ]
	s_ashr_i32 s6, s6, 6
.Ltmp10:
	.loc	1 73 22                         ; int8_utils_aot.py:73:22
	s_xor_b32 s7, s19, s7
	s_add_i32 s23, s21, 1
	s_sub_i32 s24, s22, s18
	s_cmp_ge_u32 s22, s18
	s_cselect_b32 s21, s23, s21
	s_cselect_b32 s22, s24, s22
	s_add_i32 s23, s21, 1
	s_cmp_ge_u32 s22, s18
	s_cselect_b32 s18, s23, s21
	s_xor_b32 s18, s18, s7
	s_sub_i32 s7, s18, s7
	.loc	1 74 29                         ; int8_utils_aot.py:74:29
	s_lshl_b32 s18, s7, 3
	.loc	1 75 35                         ; int8_utils_aot.py:75:35
	s_sub_i32 s6, s6, s18
	.loc	1 75 48 is_stmt 0               ; int8_utils_aot.py:75:48
	s_min_i32 s21, s6, 8
	.loc	1 76 33 is_stmt 1               ; int8_utils_aot.py:76:33
	s_abs_i32 s22, s21
	v_cvt_f32_u32_e32 v1, s22
	s_sub_i32 s6, 0, s22
	.loc	1 77 19                         ; int8_utils_aot.py:77:19
	s_mul_i32 s7, s7, s17
	.loc	1 80 51                         ; int8_utils_aot.py:80:51
	v_and_b32_e32 v68, 32, v0
	.loc	1 76 33                         ; int8_utils_aot.py:76:33
	v_rcp_iflag_f32_e32 v1, v1
	s_mov_b32 s33, 0
	v_mul_f32_e32 v1, 0x4f7ffffe, v1
	v_cvt_u32_f32_e32 v1, v1
	s_nop 0
	v_readfirstlane_b32 s23, v1
	s_mul_i32 s6, s6, s23
	s_mul_hi_u32 s6, s23, s6
	s_add_i32 s23, s23, s6
	s_mul_hi_u32 s6, s20, s23
	s_mul_i32 s6, s6, s22
	s_sub_i32 s6, s20, s6
	s_sub_i32 s20, s6, s22
	s_cmp_ge_u32 s6, s22
	s_cselect_b32 s6, s20, s6
	s_sub_i32 s20, s6, s22
	s_cmp_ge_u32 s6, s22
	s_cselect_b32 s6, s20, s6
	.loc	1 77 19                         ; int8_utils_aot.py:77:19
	s_sub_i32 s7, s16, s7
	.loc	1 76 33                         ; int8_utils_aot.py:76:33
	s_xor_b32 s6, s6, s19
	.loc	1 77 40                         ; int8_utils_aot.py:77:40
	s_xor_b32 s16, s7, s21
	s_abs_i32 s7, s7
	.loc	1 76 33                         ; int8_utils_aot.py:76:33
	s_sub_i32 s6, s6, s19
	.loc	1 77 40                         ; int8_utils_aot.py:77:40
	s_mul_hi_u32 s17, s7, s23
	.loc	1 76 27                         ; int8_utils_aot.py:76:27
	s_add_i32 s6, s18, s6
	.loc	1 77 40                         ; int8_utils_aot.py:77:40
	s_mul_i32 s18, s17, s22
	s_sub_i32 s7, s7, s18
	s_ashr_i32 s16, s16, 31
	s_add_i32 s18, s17, 1
	s_sub_i32 s19, s7, s22
	s_cmp_ge_u32 s7, s22
	s_cselect_b32 s17, s18, s17
	s_cselect_b32 s7, s19, s7
	s_add_i32 s18, s17, 1
	s_cmp_ge_u32 s7, s22
	s_cselect_b32 s7, s18, s17
	.loc	1 79 68                         ; int8_utils_aot.py:79:68
	s_abs_i32 s90, s12
	v_cvt_f32_u32_e32 v1, s90
	.loc	1 77 40                         ; int8_utils_aot.py:77:40
	s_xor_b32 s7, s7, s16
	s_sub_i32 s16, s7, s16
	.loc	1 80 51                         ; int8_utils_aot.py:80:51
	s_lshr_b32 s17, s99, 1
	.loc	1 79 68                         ; int8_utils_aot.py:79:68
	v_rcp_iflag_f32_e32 v1, v1
	.loc	1 80 23                         ; int8_utils_aot.py:80:23
	s_lshl_b32 s59, s16, 7
	.loc	1 80 68 is_stmt 0               ; int8_utils_aot.py:80:68
	s_abs_i32 s56, s13
	s_bfe_i32 s57, s16, 0x10018
	.loc	1 79 68 is_stmt 1               ; int8_utils_aot.py:79:68
	v_mul_f32_e32 v1, 0x4f7ffffe, v1
	v_cvt_u32_f32_e32 v2, v1
	.loc	1 80 68                         ; int8_utils_aot.py:80:68
	s_sub_i32 s16, 0, s56
	.loc	1 79 23                         ; int8_utils_aot.py:79:23
	s_lshl_b32 s7, s6, 6
	.loc	1 79 51 is_stmt 0               ; int8_utils_aot.py:79:51
	v_and_b32_e32 v1, 31, v0
	.loc	1 79 68                         ; int8_utils_aot.py:79:68
	v_readfirstlane_b32 s89, v2
	.loc	1 80 51 is_stmt 1               ; int8_utils_aot.py:80:51
	v_lshrrev_b32_e32 v2, 3, v68
	v_or_b32_e32 v2, s17, v2
	.loc	1 80 38 is_stmt 0               ; int8_utils_aot.py:80:38
	v_or_b32_e32 v254, s59, v2
	.loc	1 80 68                         ; int8_utils_aot.py:80:68
	v_cvt_f32_u32_e32 v2, s56
	v_add_u32_e32 v3, s57, v254
	v_xor_b32_e32 v3, s57, v3
	.loc	1 80 38                         ; int8_utils_aot.py:80:38
	v_or_b32_e32 v49, 1, v254
	.loc	1 80 68                         ; int8_utils_aot.py:80:68
	v_rcp_iflag_f32_e32 v2, v2
	.loc	1 80 38                         ; int8_utils_aot.py:80:38
	v_or_b32_e32 v48, 2, v254
	v_or_b32_e32 v47, 3, v254
	;; [unrolled: 1-line block ×3, first 2 shown]
	.loc	1 80 68                         ; int8_utils_aot.py:80:68
	v_mul_f32_e32 v2, 0x4f7ffffe, v2
	v_cvt_u32_f32_e32 v2, v2
	.loc	1 80 38                         ; int8_utils_aot.py:80:38
	v_or_b32_e32 v33, 9, v254
	v_or_b32_e32 v29, 10, v254
	;; [unrolled: 1-line block ×3, first 2 shown]
	.loc	1 80 68                         ; int8_utils_aot.py:80:68
	v_mul_lo_u32 v4, s16, v2
	v_mul_hi_u32 v4, v2, v4
	v_add_u32_e32 v4, v2, v4
	v_mul_hi_u32 v2, v3, v4
	v_mul_lo_u32 v2, v2, s56
	v_sub_u32_e32 v2, v3, v2
	v_subrev_u32_e32 v3, s56, v2
	v_cmp_le_u32_e32 vcc, s56, v2
	.loc	1 80 38                         ; int8_utils_aot.py:80:38
	v_or_b32_e32 v24, 16, v254
	v_or_b32_e32 v23, 17, v254
	.loc	1 80 68                         ; int8_utils_aot.py:80:68
	v_cndmask_b32_e32 v5, v2, v3, vcc
	v_add_u32_e32 v2, s57, v49
	v_xor_b32_e32 v2, s57, v2
	v_mul_hi_u32 v3, v2, v4
	v_mul_lo_u32 v3, v3, s56
	v_sub_u32_e32 v2, v2, v3
	v_subrev_u32_e32 v3, s56, v2
	v_cmp_le_u32_e64 s[16:17], s56, v2
	.loc	1 80 38                         ; int8_utils_aot.py:80:38
	v_or_b32_e32 v28, 18, v254
	v_or_b32_e32 v27, 19, v254
	.loc	1 80 68                         ; int8_utils_aot.py:80:68
	v_cndmask_b32_e64 v8, v2, v3, s[16:17]
	v_add_u32_e32 v2, s57, v48
	v_xor_b32_e32 v2, s57, v2
	v_mul_hi_u32 v3, v2, v4
	v_mul_lo_u32 v3, v3, s56
	v_sub_u32_e32 v2, v2, v3
	v_subrev_u32_e32 v3, s56, v2
	v_cmp_le_u32_e64 s[16:17], s56, v2
	.loc	1 80 38                         ; int8_utils_aot.py:80:38
	v_or_b32_e32 v32, 24, v254
	v_or_b32_e32 v31, 25, v254
	.loc	1 80 68                         ; int8_utils_aot.py:80:68
	v_cndmask_b32_e64 v9, v2, v3, s[16:17]
	;; [unrolled: 12-line block ×3, first 2 shown]
	v_add_u32_e32 v2, s57, v46
	v_xor_b32_e32 v2, s57, v2
	v_mul_hi_u32 v3, v2, v4
	v_mul_lo_u32 v3, v3, s56
	v_sub_u32_e32 v2, v2, v3
	v_subrev_u32_e32 v3, s56, v2
	v_cmp_le_u32_e64 s[18:19], s56, v2
	.loc	1 79 38 is_stmt 1               ; int8_utils_aot.py:79:38
	v_or_b32_e32 v50, s7, v1
.Ltmp11:
	.loc	2 43 17                         ; standard.py:43:17 @[ int8_utils_aot.py:90:33 ]
	s_add_i32 s92, s14, 0x7f
.Ltmp12:
	.loc	1 80 68                         ; int8_utils_aot.py:80:68
	v_cndmask_b32_e64 v11, v2, v3, s[18:19]
	v_add_u32_e32 v2, s57, v33
	v_xor_b32_e32 v2, s57, v2
	v_mul_hi_u32 v3, v2, v4
	v_mul_lo_u32 v3, v3, s56
	v_sub_u32_e32 v2, v2, v3
	v_subrev_u32_e32 v3, s56, v2
	v_cmp_le_u32_e64 s[20:21], s56, v2
	.loc	1 79 38                         ; int8_utils_aot.py:79:38
	v_or_b32_e32 v43, 32, v50
	.loc	1 80 68                         ; int8_utils_aot.py:80:68
	v_cmp_le_u32_e32 vcc, s56, v5
	v_cndmask_b32_e64 v12, v2, v3, s[20:21]
	v_add_u32_e32 v2, s57, v29
	v_xor_b32_e32 v2, s57, v2
	v_mul_hi_u32 v3, v2, v4
	v_mul_lo_u32 v3, v3, s56
	v_sub_u32_e32 v2, v2, v3
	v_subrev_u32_e32 v3, s56, v2
	v_cmp_le_u32_e64 s[22:23], s56, v2
	v_cmp_le_u32_e64 s[44:45], s56, v8
	v_cmp_le_u32_e64 s[46:47], s56, v9
	v_cndmask_b32_e64 v13, v2, v3, s[22:23]
	v_add_u32_e32 v2, s57, v25
	v_xor_b32_e32 v2, s57, v2
	v_mul_hi_u32 v3, v2, v4
	v_mul_lo_u32 v3, v3, s56
	v_sub_u32_e32 v2, v2, v3
	v_subrev_u32_e32 v3, s56, v2
	v_cmp_le_u32_e64 s[24:25], s56, v2
	v_cmp_le_u32_e64 s[16:17], s56, v10
	v_cmp_le_u32_e64 s[18:19], s56, v11
	;; [unrolled: 10-line block ×4, first 2 shown]
	v_cndmask_b32_e64 v16, v2, v3, s[28:29]
	v_add_u32_e32 v2, s57, v28
	v_xor_b32_e32 v2, s57, v2
	v_mul_hi_u32 v3, v2, v4
	v_mul_lo_u32 v3, v3, s56
	v_sub_u32_e32 v2, v2, v3
	v_subrev_u32_e32 v3, s56, v2
	v_cmp_le_u32_e64 s[30:31], s56, v2
	v_cmp_le_u32_e64 s[28:29], s56, v16
	.loc	1 90 22                         ; int8_utils_aot.py:90:22
	s_cmpk_lt_i32 s92, 0x80
	.loc	1 80 68                         ; int8_utils_aot.py:80:68
	v_cndmask_b32_e64 v17, v2, v3, s[30:31]
	v_add_u32_e32 v2, s57, v27
	v_xor_b32_e32 v2, s57, v2
	v_mul_hi_u32 v3, v2, v4
	v_mul_lo_u32 v3, v3, s56
	v_sub_u32_e32 v2, v2, v3
	v_subrev_u32_e32 v3, s56, v2
	v_cmp_le_u32_e64 s[34:35], s56, v2
	v_cmp_le_u32_e64 s[30:31], s56, v17
	s_nop 0
	v_cndmask_b32_e64 v18, v2, v3, s[34:35]
	v_add_u32_e32 v2, s57, v32
	v_xor_b32_e32 v2, s57, v2
	v_mul_hi_u32 v3, v2, v4
	v_mul_lo_u32 v3, v3, s56
	v_sub_u32_e32 v2, v2, v3
	v_subrev_u32_e32 v3, s56, v2
	v_cmp_le_u32_e64 s[36:37], s56, v2
	v_cmp_le_u32_e64 s[34:35], s56, v18
	s_nop 0
	;; [unrolled: 10-line block ×5, first 2 shown]
	v_cndmask_b32_e64 v22, v2, v3, s[42:43]
	v_cmp_le_u32_e64 s[42:43], s56, v22
	.loc	1 90 22                         ; int8_utils_aot.py:90:22
	s_cbranch_scc1 .LBB0_196
; %bb.1:                                ; %.lr.ph
	.loc	1 0 22 is_stmt 0                ; int8_utils_aot.py:0:22
	v_accvgpr_write_b32 a38, v23
	v_subrev_u32_e32 v23, s56, v5
	v_cndmask_b32_e32 v5, v5, v23, vcc
	v_subrev_u32_e32 v23, s56, v8
	v_cndmask_b32_e64 v8, v8, v23, s[44:45]
	v_subrev_u32_e32 v23, s56, v9
	v_cndmask_b32_e64 v9, v9, v23, s[46:47]
	;; [unrolled: 2-line block ×9, first 2 shown]
	v_subrev_u32_e32 v23, s56, v17
	s_bfe_i32 s58, s6, 0x10019
	s_sub_i32 s6, 0, s90
	v_cndmask_b32_e64 v17, v17, v23, s[30:31]
	v_subrev_u32_e32 v23, s56, v18
	s_mul_i32 s6, s6, s89
	v_cndmask_b32_e64 v18, v18, v23, s[34:35]
	v_add_u32_e32 v2, s58, v50
	s_mul_hi_u32 s6, s89, s6
	v_xor_b32_e32 v18, s57, v18
	v_accvgpr_write_b32 a35, v32
	v_xor_b32_e32 v32, s58, v2
	s_add_i32 s89, s89, s6
	v_subrev_u32_e32 v34, s57, v18
	v_subrev_u32_e32 v18, s56, v19
	v_mad_u64_u32 v[6:7], s[60:61], v32, s89, 0
	v_add_u32_e32 v2, s58, v43
	v_cndmask_b32_e64 v18, v19, v18, s[36:37]
	v_and_or_b32 v69, v0, 63, s99
	v_xor_b32_e32 v6, s58, v2
	v_xor_b32_e32 v18, s57, v18
	v_mad_u64_u32 v[2:3], s[60:61], v6, s89, 0
	v_and_b32_e32 v109, 0x7f, v69
	v_subrev_u32_e32 v35, s57, v18
	v_subrev_u32_e32 v18, s56, v20
	v_or_b32_e32 v2, s59, v109
	v_cndmask_b32_e64 v18, v20, v18, s[38:39]
	v_xor_b32_e32 v5, s57, v5
	v_xor_b32_e32 v18, s57, v18
	v_add_u32_e32 v2, s57, v2
	v_accvgpr_write_b32 a43, v46
	v_accvgpr_write_b32 a42, v33
	v_subrev_u32_e32 v5, s57, v5
	v_subrev_u32_e32 v46, s57, v18
	;; [unrolled: 1-line block ×3, first 2 shown]
	v_xor_b32_e32 v33, s57, v2
	v_cndmask_b32_e64 v18, v21, v18, s[40:41]
	v_mad_u64_u32 v[20:21], s[16:17], v33, v4, 0
	v_sub_u32_e32 v4, 0, v5
	s_abs_i32 s95, s15
	v_accvgpr_write_b32 a46, v49
	v_max_i32_e32 v49, v4, v5
	v_cvt_f32_u32_e32 v4, s95
	s_sub_i32 s6, 0, s95
	v_xor_b32_e32 v8, s57, v8
	v_ashrrev_i32_e32 v2, 31, v5
	v_rcp_iflag_f32_e32 v4, v4
	v_subrev_u32_e32 v8, s57, v8
	v_xor_b32_e32 v9, s57, v9
	v_subrev_u32_e32 v9, s57, v9
	v_mul_f32_e32 v4, 0x4f7ffffe, v4
	v_cvt_u32_f32_e32 v4, v4
	v_xor_b32_e32 v10, s57, v10
	v_subrev_u32_e32 v10, s57, v10
	v_xor_b32_e32 v11, s57, v11
	v_mul_lo_u32 v5, s6, v4
	v_mul_hi_u32 v5, v4, v5
	v_add_u32_e32 v4, v4, v5
	v_sub_u32_e32 v5, 0, v8
	v_max_i32_e32 v51, v5, v8
	v_sub_u32_e32 v5, 0, v9
	v_subrev_u32_e32 v11, s57, v11
	v_xor_b32_e32 v12, s57, v12
	v_max_i32_e32 v53, v5, v9
	v_sub_u32_e32 v5, 0, v10
	v_subrev_u32_e32 v12, s57, v12
	v_xor_b32_e32 v13, s57, v13
	;; [unrolled: 4-line block ×5, first 2 shown]
	v_max_i32_e32 v61, v5, v13
	v_sub_u32_e32 v5, 0, v14
	v_accvgpr_write_b32 a33, v45
	v_accvgpr_write_b32 a31, v43
	v_subrev_u32_e32 v16, s57, v16
	v_xor_b32_e32 v17, s57, v17
	v_mad_u64_u32 v[42:43], s[16:17], v49, v4, 0
	v_max_i32_e32 v45, v5, v14
	v_sub_u32_e32 v5, 0, v15
	v_subrev_u32_e32 v17, s57, v17
	v_xor_b32_e32 v18, s57, v18
	v_mad_u64_u32 v[38:39], s[16:17], v53, v4, 0
	v_max_i32_e32 v42, v5, v15
	v_sub_u32_e32 v5, 0, v16
	v_accvgpr_write_b32 a44, v47
	v_accvgpr_write_b32 a34, v31
	v_subrev_u32_e32 v47, s57, v18
	v_subrev_u32_e32 v18, s56, v22
	v_mad_u64_u32 v[30:31], s[16:17], v57, v4, 0
	v_max_i32_e32 v38, v5, v16
	v_sub_u32_e32 v5, 0, v17
	v_accvgpr_write_b32 a36, v27
	v_cndmask_b32_e64 v18, v22, v18, s[42:43]
	v_mad_u64_u32 v[26:27], s[16:17], v61, v4, 0
	v_max_i32_e32 v30, v5, v17
	v_sub_u32_e32 v5, 0, v34
	v_xor_b32_e32 v18, s57, v18
	v_mad_u64_u32 v[22:23], s[16:17], v42, v4, 0
	v_max_i32_e32 v26, v5, v34
	v_sub_u32_e32 v5, 0, v35
	v_accvgpr_write_b32 a45, v48
	v_subrev_u32_e32 v48, s57, v18
	v_mad_u64_u32 v[40:41], s[16:17], v51, v4, 0
	v_mad_u64_u32 v[18:19], s[16:17], v38, v4, 0
	v_max_i32_e32 v22, v5, v35
	v_sub_u32_e32 v5, 0, v46
	v_accvgpr_write_b32 a32, v44
	v_ashrrev_i32_e32 v44, 31, v14
	v_ashrrev_i32_e32 v40, 31, v15
	v_mad_u64_u32 v[14:15], s[16:17], v26, v4, 0
	v_max_i32_e32 v18, v5, v46
	v_sub_u32_e32 v5, 0, v47
	v_ashrrev_i32_e32 v54, 31, v10
	v_ashrrev_i32_e32 v56, 31, v11
	v_mad_u64_u32 v[10:11], s[16:17], v18, v4, 0
	v_max_i32_e32 v14, v5, v47
	v_sub_u32_e32 v5, 0, v48
	v_accvgpr_write_b32 a41, v29
	v_accvgpr_write_b32 a37, v28
	v_mad_u64_u32 v[36:37], s[16:17], v55, v4, 0
	v_mad_u64_u32 v[28:29], s[16:17], v59, v4, 0
	v_max_i32_e32 v10, v5, v48
	v_accvgpr_write_b32 a40, v25
	v_accvgpr_write_b32 a39, v24
	;; [unrolled: 1-line block ×3, first 2 shown]
	v_ashrrev_i32_e32 v50, 31, v8
	v_ashrrev_i32_e32 v52, 31, v9
	;; [unrolled: 1-line block ×4, first 2 shown]
	v_mad_u64_u32 v[24:25], s[16:17], v45, v4, 0
	v_ashrrev_i32_e32 v36, 31, v16
	v_ashrrev_i32_e32 v28, 31, v17
	v_mad_u64_u32 v[16:17], s[16:17], v30, v4, 0
	v_mad_u64_u32 v[12:13], s[16:17], v22, v4, 0
	;; [unrolled: 1-line block ×4, first 2 shown]
	.loc	1 79 68 is_stmt 1               ; int8_utils_aot.py:79:68
	v_mul_lo_u32 v4, v7, s90
	v_sub_u32_e32 v4, v32, v4
	v_cmp_le_u32_e32 vcc, s90, v4
	v_subrev_u32_e32 v7, s90, v4
	v_mul_lo_u32 v3, v3, s90
	v_cndmask_b32_e32 v4, v4, v7, vcc
	v_cmp_le_u32_e32 vcc, s90, v4
	v_subrev_u32_e32 v7, s90, v4
	v_sub_u32_e32 v3, v6, v3
	v_cndmask_b32_e32 v4, v4, v7, vcc
	v_cmp_le_u32_e32 vcc, s90, v3
	v_subrev_u32_e32 v6, s90, v3
                                        ; implicit-def: $vgpr255 : SGPR spill to VGPR lane
	v_xor_b32_e32 v4, s58, v4
	v_cndmask_b32_e32 v3, v3, v6, vcc
	v_cmp_le_u32_e32 vcc, s90, v3
	v_subrev_u32_e32 v6, s90, v3
	v_writelane_b32 v255, s48, 0
	v_cndmask_b32_e32 v3, v3, v6, vcc
	.loc	1 80 68                         ; int8_utils_aot.py:80:68
	v_mul_lo_u32 v6, v21, s56
	v_sub_u32_e32 v6, v33, v6
	v_cmp_le_u32_e32 vcc, s56, v6
	v_subrev_u32_e32 v7, s56, v6
	v_writelane_b32 v255, s49, 1
	s_load_dwordx4 s[52:55], s[0:1], 0x38
	s_load_dword s93, s[0:1], 0x48
	s_load_dwordx4 s[48:51], s[0:1], 0x54
	v_cndmask_b32_e32 v6, v6, v7, vcc
	v_cmp_le_u32_e32 vcc, s56, v6
	v_subrev_u32_e32 v7, s56, v6
	.loc	1 79 68                         ; int8_utils_aot.py:79:68
	v_subrev_u32_e32 v4, s58, v4
	.loc	1 80 68                         ; int8_utils_aot.py:80:68
	v_cndmask_b32_e32 v6, v6, v7, vcc
	v_xor_b32_e32 v6, s57, v6
	v_subrev_u32_e32 v6, s57, v6
	.loc	1 79 68                         ; int8_utils_aot.py:79:68
	v_xor_b32_e32 v3, s58, v3
	.loc	1 83 67                         ; int8_utils_aot.py:83:67
	s_waitcnt lgkmcnt(0)
	v_mul_lo_u32 v70, v6, s93
	.loc	1 85 29                         ; int8_utils_aot.py:85:29
	v_mul_lo_u32 v6, v4, s48
	.loc	1 79 68                         ; int8_utils_aot.py:79:68
	v_subrev_u32_e32 v3, s58, v3
	.loc	1 85 19                         ; int8_utils_aot.py:85:19
	v_ashrrev_i32_e32 v7, 31, v6
	.loc	1 85 29 is_stmt 0               ; int8_utils_aot.py:85:29
	v_mul_lo_u32 v32, v3, s48
	.loc	1 85 19                         ; int8_utils_aot.py:85:19
	v_lshl_add_u64 v[6:7], v[6:7], 2, s[8:9]
	v_accvgpr_write_b32 a49, v7
	v_ashrrev_i32_e32 v33, 31, v32
	v_accvgpr_write_b32 a48, v6
	v_lshl_add_u64 v[6:7], v[32:33], 2, s[8:9]
	.loc	1 86 26 is_stmt 1               ; int8_utils_aot.py:86:26
	v_mul_lo_u32 v3, v43, s95
	v_accvgpr_write_b32 a51, v7
	v_sub_u32_e32 v3, v49, v3
	v_accvgpr_write_b32 a50, v6
	v_cmp_le_u32_e32 vcc, s95, v3
	v_add_u32_e32 v4, 1, v43
	v_subrev_u32_e32 v6, s95, v3
	v_cndmask_b32_e32 v4, v43, v4, vcc
	v_cndmask_b32_e32 v3, v3, v6, vcc
	v_cmp_le_u32_e32 vcc, s95, v3
	v_add_u32_e32 v3, 1, v4
	v_add_u32_e32 v6, 1, v41
	v_cndmask_b32_e32 v3, v4, v3, vcc
	v_mul_lo_u32 v4, v41, s95
	v_sub_u32_e32 v4, v51, v4
	v_cmp_le_u32_e32 vcc, s95, v4
	v_subrev_u32_e32 v7, s95, v4
	.loc	1 0 0 is_stmt 0                 ; int8_utils_aot.py:0
	s_ashr_i32 s94, s15, 31
	.loc	1 86 26                         ; int8_utils_aot.py:86:26
	v_cndmask_b32_e32 v6, v41, v6, vcc
	v_cndmask_b32_e32 v4, v4, v7, vcc
	v_cmp_le_u32_e32 vcc, s95, v4
	v_add_u32_e32 v4, 1, v6
	v_add_u32_e32 v7, 1, v39
	v_cndmask_b32_e32 v4, v6, v4, vcc
	v_mul_lo_u32 v6, v39, s95
	v_sub_u32_e32 v6, v53, v6
	v_cmp_le_u32_e32 vcc, s95, v6
	v_subrev_u32_e32 v21, s95, v6
	v_xor_b32_e32 v2, s94, v2
	v_cndmask_b32_e32 v7, v39, v7, vcc
	v_cndmask_b32_e32 v6, v6, v21, vcc
	v_cmp_le_u32_e32 vcc, s95, v6
	v_add_u32_e32 v6, 1, v7
	v_add_u32_e32 v21, 1, v37
	v_cndmask_b32_e32 v6, v7, v6, vcc
	v_mul_lo_u32 v7, v37, s95
	v_sub_u32_e32 v7, v55, v7
	v_cmp_le_u32_e32 vcc, s95, v7
	v_subrev_u32_e32 v32, s95, v7
	v_xor_b32_e32 v3, v3, v2
	v_cndmask_b32_e32 v21, v37, v21, vcc
	v_cndmask_b32_e32 v7, v7, v32, vcc
	v_cmp_le_u32_e32 vcc, s95, v7
	v_add_u32_e32 v7, 1, v21
	v_add_u32_e32 v32, 1, v31
	v_cndmask_b32_e32 v7, v21, v7, vcc
	v_mul_lo_u32 v21, v31, s95
	v_sub_u32_e32 v21, v57, v21
	v_cmp_le_u32_e32 vcc, s95, v21
	v_sub_u32_e32 v2, v3, v2
	v_xor_b32_e32 v3, s94, v50
	v_cndmask_b32_e32 v31, v31, v32, vcc
	v_subrev_u32_e32 v32, s95, v21
	v_cndmask_b32_e32 v21, v21, v32, vcc
	v_cmp_le_u32_e32 vcc, s95, v21
	v_add_u32_e32 v21, 1, v31
	v_add_u32_e32 v32, 1, v29
	v_cndmask_b32_e32 v21, v31, v21, vcc
	v_mul_lo_u32 v31, v29, s95
	v_sub_u32_e32 v31, v59, v31
	v_cmp_le_u32_e32 vcc, s95, v31
	v_xor_b32_e32 v4, v4, v3
	v_sub_u32_e32 v3, v4, v3
	v_cndmask_b32_e32 v29, v29, v32, vcc
	v_subrev_u32_e32 v32, s95, v31
	v_cndmask_b32_e32 v31, v31, v32, vcc
	v_cmp_le_u32_e32 vcc, s95, v31
	v_add_u32_e32 v31, 1, v29
	v_add_u32_e32 v32, 1, v27
	v_cndmask_b32_e32 v29, v29, v31, vcc
	v_mul_lo_u32 v31, v27, s95
	v_sub_u32_e32 v31, v61, v31
	v_cmp_le_u32_e32 vcc, s95, v31
	v_xor_b32_e32 v4, s94, v52
	v_xor_b32_e32 v6, v6, v4
	v_cndmask_b32_e32 v27, v27, v32, vcc
	v_subrev_u32_e32 v32, s95, v31
	v_cndmask_b32_e32 v31, v31, v32, vcc
	v_cmp_le_u32_e32 vcc, s95, v31
	v_add_u32_e32 v31, 1, v27
	v_add_u32_e32 v32, 1, v25
	v_cndmask_b32_e32 v27, v27, v31, vcc
	v_mul_lo_u32 v31, v25, s95
	v_sub_u32_e32 v31, v45, v31
	v_cmp_le_u32_e32 vcc, s95, v31
	v_sub_u32_e32 v6, v6, v4
	v_xor_b32_e32 v4, s94, v54
	v_cndmask_b32_e32 v25, v25, v32, vcc
	v_subrev_u32_e32 v32, s95, v31
	v_cndmask_b32_e32 v31, v31, v32, vcc
	v_cmp_le_u32_e32 vcc, s95, v31
	v_add_u32_e32 v31, 1, v25
	v_xor_b32_e32 v7, v7, v4
	v_cndmask_b32_e32 v25, v25, v31, vcc
	v_mul_lo_u32 v31, v23, s95
	v_sub_u32_e32 v31, v42, v31
	v_sub_u32_e32 v7, v7, v4
	v_xor_b32_e32 v4, s94, v56
	v_cmp_le_u32_e32 vcc, s95, v31
	v_add_u32_e32 v32, 1, v23
	v_xor_b32_e32 v21, v21, v4
	v_cndmask_b32_e32 v23, v23, v32, vcc
	v_subrev_u32_e32 v32, s95, v31
	v_sub_u32_e32 v21, v21, v4
	v_xor_b32_e32 v4, s94, v58
	v_cndmask_b32_e32 v31, v31, v32, vcc
	v_xor_b32_e32 v29, v29, v4
	v_cmp_le_u32_e32 vcc, s95, v31
	v_add_u32_e32 v31, 1, v23
	v_sub_u32_e32 v29, v29, v4
	v_xor_b32_e32 v4, s94, v60
	v_cndmask_b32_e32 v23, v23, v31, vcc
	v_mul_lo_u32 v31, v19, s95
	v_xor_b32_e32 v27, v27, v4
	v_sub_u32_e32 v31, v38, v31
	v_sub_u32_e32 v27, v27, v4
	v_xor_b32_e32 v4, s94, v44
	v_cmp_le_u32_e32 vcc, s95, v31
	v_add_u32_e32 v32, 1, v19
	v_xor_b32_e32 v25, v25, v4
	v_cndmask_b32_e32 v19, v19, v32, vcc
	v_subrev_u32_e32 v32, s95, v31
	v_sub_u32_e32 v25, v25, v4
	v_xor_b32_e32 v4, s94, v40
	v_cndmask_b32_e32 v31, v31, v32, vcc
	v_xor_b32_e32 v23, v23, v4
	v_cmp_le_u32_e32 vcc, s95, v31
	v_add_u32_e32 v31, 1, v19
	v_sub_u32_e32 v23, v23, v4
	v_xor_b32_e32 v4, s94, v36
	v_cndmask_b32_e32 v19, v19, v31, vcc
	v_xor_b32_e32 v19, v19, v4
	v_sub_u32_e32 v19, v19, v4
	v_xor_b32_e32 v4, s94, v28
	v_mul_lo_u32 v28, v17, s95
	v_sub_u32_e32 v28, v30, v28
	v_cmp_le_u32_e32 vcc, s95, v28
	v_add_u32_e32 v30, 1, v17
	.loc	1 0 0                           ; int8_utils_aot.py:0
	v_ashrrev_i32_e32 v24, 31, v34
	.loc	1 86 26                         ; int8_utils_aot.py:86:26
	v_cndmask_b32_e32 v17, v17, v30, vcc
	v_subrev_u32_e32 v30, s95, v28
	v_cndmask_b32_e32 v28, v28, v30, vcc
	v_cmp_le_u32_e32 vcc, s95, v28
	v_add_u32_e32 v28, 1, v17
	.loc	1 0 0                           ; int8_utils_aot.py:0
	v_ashrrev_i32_e32 v20, 31, v35
	.loc	1 86 26                         ; int8_utils_aot.py:86:26
	v_cndmask_b32_e32 v17, v17, v28, vcc
	v_xor_b32_e32 v17, v17, v4
	v_sub_u32_e32 v17, v17, v4
	v_xor_b32_e32 v4, s94, v24
	v_mul_lo_u32 v24, v15, s95
	v_sub_u32_e32 v24, v26, v24
	v_cmp_le_u32_e32 vcc, s95, v24
	v_add_u32_e32 v26, 1, v15
	.loc	1 0 0                           ; int8_utils_aot.py:0
	v_ashrrev_i32_e32 v16, 31, v46
	.loc	1 86 26                         ; int8_utils_aot.py:86:26
	v_cndmask_b32_e32 v15, v15, v26, vcc
	v_subrev_u32_e32 v26, s95, v24
	v_cndmask_b32_e32 v24, v24, v26, vcc
	v_cmp_le_u32_e32 vcc, s95, v24
	v_add_u32_e32 v24, 1, v15
	.loc	1 0 0                           ; int8_utils_aot.py:0
	v_ashrrev_i32_e32 v12, 31, v47
	.loc	1 86 26                         ; int8_utils_aot.py:86:26
	v_cndmask_b32_e32 v15, v15, v24, vcc
	v_xor_b32_e32 v15, v15, v4
	v_sub_u32_e32 v15, v15, v4
	v_xor_b32_e32 v4, s94, v20
	v_mul_lo_u32 v20, v13, s95
	v_sub_u32_e32 v20, v22, v20
	v_cmp_le_u32_e32 vcc, s95, v20
	v_add_u32_e32 v22, 1, v13
	.loc	1 0 0                           ; int8_utils_aot.py:0
	v_ashrrev_i32_e32 v8, 31, v48
	.loc	1 86 26                         ; int8_utils_aot.py:86:26
	v_cndmask_b32_e32 v13, v13, v22, vcc
	v_subrev_u32_e32 v22, s95, v20
	v_cndmask_b32_e32 v20, v20, v22, vcc
	v_cmp_le_u32_e32 vcc, s95, v20
	v_add_u32_e32 v20, 1, v13
	.loc	1 87 30 is_stmt 1               ; int8_utils_aot.py:87:30
	v_mul_lo_u32 v2, v2, s51
	.loc	1 86 26                         ; int8_utils_aot.py:86:26
	v_cndmask_b32_e32 v13, v13, v20, vcc
	v_xor_b32_e32 v13, v13, v4
	v_sub_u32_e32 v13, v13, v4
	v_xor_b32_e32 v4, s94, v16
	v_mul_lo_u32 v16, v11, s95
	v_sub_u32_e32 v16, v18, v16
	v_cmp_le_u32_e32 vcc, s95, v16
	v_add_u32_e32 v18, 1, v11
	.loc	1 87 30                         ; int8_utils_aot.py:87:30
	v_mul_lo_u32 v6, v6, s51
	.loc	1 86 26                         ; int8_utils_aot.py:86:26
	v_cndmask_b32_e32 v11, v11, v18, vcc
	v_subrev_u32_e32 v18, s95, v16
	v_cndmask_b32_e32 v16, v16, v18, vcc
	v_cmp_le_u32_e32 vcc, s95, v16
	v_add_u32_e32 v16, 1, v11
	.loc	1 87 30                         ; int8_utils_aot.py:87:30
	v_mul_lo_u32 v26, v13, s51
	.loc	1 86 26                         ; int8_utils_aot.py:86:26
	v_cndmask_b32_e32 v11, v11, v16, vcc
	v_xor_b32_e32 v11, v11, v4
	v_sub_u32_e32 v11, v11, v4
	v_xor_b32_e32 v4, s94, v12
	v_mul_lo_u32 v12, v9, s95
	v_sub_u32_e32 v12, v14, v12
	v_cmp_le_u32_e32 vcc, s95, v12
	v_add_u32_e32 v14, 1, v9
	.loc	1 87 30                         ; int8_utils_aot.py:87:30
	v_mul_lo_u32 v28, v11, s51
	.loc	1 86 26                         ; int8_utils_aot.py:86:26
	v_cndmask_b32_e32 v9, v9, v14, vcc
	v_subrev_u32_e32 v14, s95, v12
	v_cndmask_b32_e32 v12, v12, v14, vcc
	v_cmp_le_u32_e32 vcc, s95, v12
	v_add_u32_e32 v12, 1, v9
	.loc	1 87 30                         ; int8_utils_aot.py:87:30
	;; [unrolled: 19-line block ×3, first 2 shown]
	v_mul_lo_u32 v10, v21, s51
	.loc	1 86 26                         ; int8_utils_aot.py:86:26
	v_cndmask_b32_e32 v5, v5, v8, vcc
	v_xor_b32_e32 v5, v5, v4
	v_sub_u32_e32 v5, v5, v4
	.loc	1 87 30                         ; int8_utils_aot.py:87:30
	v_mul_lo_u32 v4, v3, s51
	.loc	1 87 19 is_stmt 0               ; int8_utils_aot.py:87:19
	v_ashrrev_i32_e32 v3, 31, v2
	v_lshl_add_u64 v[2:3], v[2:3], 2, s[10:11]
	.loc	1 87 30                         ; int8_utils_aot.py:87:30
	v_mul_lo_u32 v32, v5, s51
	v_accvgpr_write_b32 a53, v3
	.loc	1 87 19                         ; int8_utils_aot.py:87:19
	v_ashrrev_i32_e32 v5, 31, v4
	v_accvgpr_write_b32 a52, v2
	v_lshl_add_u64 v[2:3], v[4:5], 2, s[10:11]
	.loc	1 87 30                         ; int8_utils_aot.py:87:30
	v_mul_lo_u32 v8, v7, s51
	v_accvgpr_write_b32 a55, v3
	.loc	1 87 19                         ; int8_utils_aot.py:87:19
	v_ashrrev_i32_e32 v7, 31, v6
	v_accvgpr_write_b32 a54, v2
	v_lshl_add_u64 v[2:3], v[6:7], 2, s[10:11]
	v_accvgpr_write_b32 a57, v3
	v_ashrrev_i32_e32 v9, 31, v8
	v_accvgpr_write_b32 a56, v2
	v_lshl_add_u64 v[2:3], v[8:9], 2, s[10:11]
	v_accvgpr_write_b32 a59, v3
	v_ashrrev_i32_e32 v11, 31, v10
	.loc	1 87 30                         ; int8_utils_aot.py:87:30
	v_mul_lo_u32 v12, v29, s51
	v_accvgpr_write_b32 a58, v2
	.loc	1 87 19                         ; int8_utils_aot.py:87:19
	v_lshl_add_u64 v[2:3], v[10:11], 2, s[10:11]
	v_accvgpr_write_b32 a61, v3
	v_ashrrev_i32_e32 v13, 31, v12
	v_accvgpr_write_b32 a60, v2
	v_lshl_add_u64 v[2:3], v[12:13], 2, s[10:11]
	.loc	1 87 30                         ; int8_utils_aot.py:87:30
	v_mul_lo_u32 v24, v15, s51
	v_accvgpr_write_b32 a63, v3
	.loc	1 87 19                         ; int8_utils_aot.py:87:19
	v_ashrrev_i32_e32 v15, 31, v14
	.loc	1 87 30                         ; int8_utils_aot.py:87:30
	v_mul_lo_u32 v16, v25, s51
	v_accvgpr_write_b32 a62, v2
	.loc	1 87 19                         ; int8_utils_aot.py:87:19
	v_lshl_add_u64 v[2:3], v[14:15], 2, s[10:11]
	.loc	1 87 30                         ; int8_utils_aot.py:87:30
	v_mul_lo_u32 v22, v17, s51
	v_accvgpr_write_b32 a65, v3
	.loc	1 87 19                         ; int8_utils_aot.py:87:19
	v_ashrrev_i32_e32 v17, 31, v16
	.loc	1 87 30                         ; int8_utils_aot.py:87:30
	v_mul_lo_u32 v18, v23, s51
	v_accvgpr_write_b32 a64, v2
	.loc	1 87 19                         ; int8_utils_aot.py:87:19
	v_lshl_add_u64 v[2:3], v[16:17], 2, s[10:11]
	.loc	1 87 30                         ; int8_utils_aot.py:87:30
	v_mul_lo_u32 v20, v19, s51
	v_accvgpr_write_b32 a67, v3
	.loc	1 87 19                         ; int8_utils_aot.py:87:19
	v_ashrrev_i32_e32 v19, 31, v18
	v_accvgpr_write_b32 a66, v2
	v_lshl_add_u64 v[2:3], v[18:19], 2, s[10:11]
	v_accvgpr_write_b32 a69, v3
	v_ashrrev_i32_e32 v21, 31, v20
	v_accvgpr_write_b32 a68, v2
	v_lshl_add_u64 v[2:3], v[20:21], 2, s[10:11]
	.loc	1 79 51 is_stmt 1               ; int8_utils_aot.py:79:51
	s_and_b32 s15, s91, 0x80
	v_accvgpr_write_b32 a71, v3
	.loc	1 87 19                         ; int8_utils_aot.py:87:19
	v_ashrrev_i32_e32 v25, 31, v24
.Ltmp13:
	.loc	2 43 30                         ; standard.py:43:30 @[ int8_utils_aot.py:90:33 ]
	s_ashr_i32 s8, s92, 31
.Ltmp14:
	.loc	1 83 25                         ; int8_utils_aot.py:83:25
	s_lshr_b32 s15, s15, 4
	v_accvgpr_write_b32 a70, v2
	.loc	1 87 19                         ; int8_utils_aot.py:87:19
	v_lshl_add_u64 v[2:3], v[24:25], 2, s[10:11]
.Ltmp15:
	.loc	2 43 30                         ; standard.py:43:30 @[ int8_utils_aot.py:90:33 ]
	s_lshr_b32 s8, s8, 25
	v_accvgpr_write_b32 a73, v3
	s_add_i32 s92, s92, s8
.Ltmp16:
	.loc	1 83 36                         ; int8_utils_aot.py:83:36
	s_mul_i32 s8, s15, s55
	v_accvgpr_write_b32 a72, v2
	.loc	1 83 48 is_stmt 0               ; int8_utils_aot.py:83:48
	v_add_u32_e32 v2, s8, v70
	.loc	1 79 51 is_stmt 1               ; int8_utils_aot.py:79:51
	s_bfe_u32 s8, s91, 0x10007
	s_or_b32 s51, s7, s8
	.loc	1 79 68 is_stmt 0               ; int8_utils_aot.py:79:68
	s_ashr_i32 s8, s7, 31
	s_add_i32 s51, s51, s8
	s_add_i32 s7, s51, 62
	s_xor_b32 s7, s7, s8
	s_mul_hi_u32 s9, s7, s89
	s_mul_i32 s9, s9, s90
	.loc	1 87 19 is_stmt 1               ; int8_utils_aot.py:87:19
	v_ashrrev_i32_e32 v23, 31, v22
	v_ashrrev_i32_e32 v27, 31, v26
	v_ashrrev_i32_e32 v29, 31, v28
	v_ashrrev_i32_e32 v31, 31, v30
	v_ashrrev_i32_e32 v33, 31, v32
	.loc	1 79 68                         ; int8_utils_aot.py:79:68
	s_sub_i32 s7, s7, s9
	.loc	1 79 51 is_stmt 0               ; int8_utils_aot.py:79:51
	s_bfe_i32 s6, s91, 0x10007
	.loc	1 83 25 is_stmt 1               ; int8_utils_aot.py:83:25
	s_or_b32 s16, s15, 1
	s_or_b32 s17, s15, 2
	;; [unrolled: 1-line block ×63, first 2 shown]
	.loc	1 87 19                         ; int8_utils_aot.py:87:19
	v_lshl_add_u64 v[194:195], v[22:23], 2, s[10:11]
	v_lshl_add_u64 v[60:61], v[26:27], 2, s[10:11]
	;; [unrolled: 1-line block ×5, first 2 shown]
.Ltmp17:
	.loc	2 43 30                         ; standard.py:43:30 @[ int8_utils_aot.py:90:33 ]
	s_ashr_i32 s10, s92, 7
.Ltmp18:
	.loc	1 101 33                        ; int8_utils_aot.py:101:33
	s_lshl_b32 s11, s55, 7
	.loc	1 100 33                        ; int8_utils_aot.py:100:33
	s_lshl_b32 s48, s54, 7
	.loc	1 79 68                         ; int8_utils_aot.py:79:68
	s_sub_i32 s9, s7, s90
	s_cmp_ge_u32 s7, s90
	s_cselect_b32 s7, s9, s7
	s_sub_i32 s9, s7, s90
	s_cmp_ge_u32 s7, s90
	s_cselect_b32 s7, s9, s7
	s_xor_b32 s7, s7, s8
	s_sub_i32 s7, s7, s8
	.loc	1 82 37                         ; int8_utils_aot.py:82:37
	s_mul_i32 s97, s7, s53
	.loc	1 79 68                         ; int8_utils_aot.py:79:68
	s_add_i32 s7, s51, 60
	s_xor_b32 s7, s7, s8
	s_mul_hi_u32 s9, s7, s89
	s_mul_i32 s9, s9, s90
	s_sub_i32 s7, s7, s9
	s_sub_i32 s9, s7, s90
	s_cmp_ge_u32 s7, s90
	s_cselect_b32 s7, s9, s7
	s_sub_i32 s9, s7, s90
	s_cmp_ge_u32 s7, s90
	s_cselect_b32 s7, s9, s7
	s_xor_b32 s7, s7, s8
	s_sub_i32 s7, s7, s8
	.loc	1 82 37                         ; int8_utils_aot.py:82:37
	s_mul_i32 s7, s7, s53
	.loc	1 79 68                         ; int8_utils_aot.py:79:68
	v_writelane_b32 v255, s7, 2
	s_add_i32 s7, s51, 58
	s_xor_b32 s7, s7, s8
	s_mul_hi_u32 s9, s7, s89
	s_mul_i32 s9, s9, s90
	s_sub_i32 s7, s7, s9
	s_sub_i32 s9, s7, s90
	s_cmp_ge_u32 s7, s90
	s_cselect_b32 s7, s9, s7
	s_sub_i32 s9, s7, s90
	s_cmp_ge_u32 s7, s90
	s_cselect_b32 s7, s9, s7
	s_xor_b32 s7, s7, s8
	s_sub_i32 s7, s7, s8
	.loc	1 82 37                         ; int8_utils_aot.py:82:37
	s_mul_i32 s7, s7, s53
	.loc	1 79 68                         ; int8_utils_aot.py:79:68
	v_writelane_b32 v255, s7, 3
	s_add_i32 s7, s51, 56
	s_xor_b32 s7, s7, s8
	s_mul_hi_u32 s9, s7, s89
	s_mul_i32 s9, s9, s90
	s_sub_i32 s7, s7, s9
	s_sub_i32 s9, s7, s90
	s_cmp_ge_u32 s7, s90
	s_cselect_b32 s7, s9, s7
	s_sub_i32 s9, s7, s90
	s_cmp_ge_u32 s7, s90
	s_cselect_b32 s7, s9, s7
	s_xor_b32 s7, s7, s8
	s_sub_i32 s7, s7, s8
	.loc	1 82 37                         ; int8_utils_aot.py:82:37
	s_mul_i32 s7, s7, s53
	.loc	1 79 68                         ; int8_utils_aot.py:79:68
	v_writelane_b32 v255, s7, 4
	s_add_i32 s7, s51, 54
	s_xor_b32 s7, s7, s8
	s_mul_hi_u32 s9, s7, s89
	s_mul_i32 s9, s9, s90
	s_sub_i32 s7, s7, s9
	s_sub_i32 s9, s7, s90
	s_cmp_ge_u32 s7, s90
	s_cselect_b32 s7, s9, s7
	s_sub_i32 s9, s7, s90
	s_cmp_ge_u32 s7, s90
	s_cselect_b32 s7, s9, s7
	s_xor_b32 s7, s7, s8
	s_sub_i32 s7, s7, s8
	.loc	1 82 37                         ; int8_utils_aot.py:82:37
	s_mul_i32 s7, s7, s53
	.loc	1 79 68                         ; int8_utils_aot.py:79:68
	v_writelane_b32 v255, s7, 5
	s_add_i32 s7, s51, 52
	s_xor_b32 s7, s7, s8
	s_mul_hi_u32 s9, s7, s89
	s_mul_i32 s9, s9, s90
	s_sub_i32 s7, s7, s9
	s_sub_i32 s9, s7, s90
	s_cmp_ge_u32 s7, s90
	s_cselect_b32 s7, s9, s7
	s_sub_i32 s9, s7, s90
	s_cmp_ge_u32 s7, s90
	s_cselect_b32 s7, s9, s7
	s_xor_b32 s7, s7, s8
	s_sub_i32 s7, s7, s8
	.loc	1 82 37                         ; int8_utils_aot.py:82:37
	s_mul_i32 s7, s7, s53
	.loc	1 79 68                         ; int8_utils_aot.py:79:68
	v_writelane_b32 v255, s7, 6
	s_add_i32 s7, s51, 50
	s_xor_b32 s7, s7, s8
	s_mul_hi_u32 s9, s7, s89
	s_mul_i32 s9, s9, s90
	s_sub_i32 s7, s7, s9
	s_sub_i32 s9, s7, s90
	s_cmp_ge_u32 s7, s90
	s_cselect_b32 s7, s9, s7
	s_sub_i32 s9, s7, s90
	s_cmp_ge_u32 s7, s90
	s_cselect_b32 s7, s9, s7
	s_xor_b32 s7, s7, s8
	s_sub_i32 s7, s7, s8
	.loc	1 82 37                         ; int8_utils_aot.py:82:37
	s_mul_i32 s7, s7, s53
	.loc	1 79 68                         ; int8_utils_aot.py:79:68
	v_writelane_b32 v255, s7, 7
	s_add_i32 s7, s51, 48
	s_xor_b32 s7, s7, s8
	s_mul_hi_u32 s9, s7, s89
	s_mul_i32 s9, s9, s90
	s_sub_i32 s7, s7, s9
	s_sub_i32 s9, s7, s90
	s_cmp_ge_u32 s7, s90
	s_cselect_b32 s7, s9, s7
	s_sub_i32 s9, s7, s90
	s_cmp_ge_u32 s7, s90
	s_cselect_b32 s7, s9, s7
	s_xor_b32 s7, s7, s8
	s_sub_i32 s7, s7, s8
	.loc	1 82 37                         ; int8_utils_aot.py:82:37
	s_mul_i32 s7, s7, s53
	.loc	1 79 68                         ; int8_utils_aot.py:79:68
	v_writelane_b32 v255, s7, 8
	s_add_i32 s7, s51, 46
	s_xor_b32 s7, s7, s8
	s_mul_hi_u32 s9, s7, s89
	s_mul_i32 s9, s9, s90
	s_sub_i32 s7, s7, s9
	s_sub_i32 s9, s7, s90
	s_cmp_ge_u32 s7, s90
	s_cselect_b32 s7, s9, s7
	s_sub_i32 s9, s7, s90
	s_cmp_ge_u32 s7, s90
	s_cselect_b32 s7, s9, s7
	s_xor_b32 s7, s7, s8
	s_sub_i32 s7, s7, s8
	.loc	1 82 37                         ; int8_utils_aot.py:82:37
	s_mul_i32 s7, s7, s53
	.loc	1 79 68                         ; int8_utils_aot.py:79:68
	v_writelane_b32 v255, s7, 9
	s_add_i32 s7, s51, 44
	s_xor_b32 s7, s7, s8
	s_mul_hi_u32 s9, s7, s89
	s_mul_i32 s9, s9, s90
	s_sub_i32 s7, s7, s9
	s_sub_i32 s9, s7, s90
	s_cmp_ge_u32 s7, s90
	s_cselect_b32 s7, s9, s7
	s_sub_i32 s9, s7, s90
	s_cmp_ge_u32 s7, s90
	s_cselect_b32 s7, s9, s7
	s_xor_b32 s7, s7, s8
	s_sub_i32 s7, s7, s8
	.loc	1 82 37                         ; int8_utils_aot.py:82:37
	s_mul_i32 s7, s7, s53
	.loc	1 79 68                         ; int8_utils_aot.py:79:68
	v_writelane_b32 v255, s7, 10
	s_add_i32 s7, s51, 42
	s_xor_b32 s7, s7, s8
	s_mul_hi_u32 s9, s7, s89
	s_mul_i32 s9, s9, s90
	s_sub_i32 s7, s7, s9
	s_sub_i32 s9, s7, s90
	s_cmp_ge_u32 s7, s90
	s_cselect_b32 s7, s9, s7
	s_sub_i32 s9, s7, s90
	s_cmp_ge_u32 s7, s90
	s_cselect_b32 s7, s9, s7
	s_xor_b32 s7, s7, s8
	s_sub_i32 s7, s7, s8
	.loc	1 82 37                         ; int8_utils_aot.py:82:37
	s_mul_i32 s7, s7, s53
	.loc	1 79 68                         ; int8_utils_aot.py:79:68
	v_writelane_b32 v255, s7, 11
	s_add_i32 s7, s51, 40
	s_xor_b32 s7, s7, s8
	s_mul_hi_u32 s9, s7, s89
	s_mul_i32 s9, s9, s90
	s_sub_i32 s7, s7, s9
	s_sub_i32 s9, s7, s90
	s_cmp_ge_u32 s7, s90
	s_cselect_b32 s7, s9, s7
	s_sub_i32 s9, s7, s90
	s_cmp_ge_u32 s7, s90
	s_cselect_b32 s7, s9, s7
	s_xor_b32 s7, s7, s8
	s_sub_i32 s7, s7, s8
	.loc	1 82 37                         ; int8_utils_aot.py:82:37
	s_mul_i32 s7, s7, s53
	.loc	1 79 68                         ; int8_utils_aot.py:79:68
	v_writelane_b32 v255, s7, 12
	s_add_i32 s7, s51, 38
	s_xor_b32 s7, s7, s8
	s_mul_hi_u32 s9, s7, s89
	s_mul_i32 s9, s9, s90
	s_sub_i32 s7, s7, s9
	s_sub_i32 s9, s7, s90
	s_cmp_ge_u32 s7, s90
	s_cselect_b32 s7, s9, s7
	s_sub_i32 s9, s7, s90
	s_cmp_ge_u32 s7, s90
	s_cselect_b32 s7, s9, s7
	s_xor_b32 s7, s7, s8
	s_sub_i32 vcc_lo, s7, s8
	s_add_i32 s7, s51, 36
	s_xor_b32 s7, s7, s8
	s_mul_hi_u32 s9, s7, s89
	s_mul_i32 s9, s9, s90
	s_sub_i32 s7, s7, s9
	s_sub_i32 s9, s7, s90
	s_cmp_ge_u32 s7, s90
	s_cselect_b32 s7, s9, s7
	s_sub_i32 s9, s7, s90
	s_cmp_ge_u32 s7, s90
	s_cselect_b32 s7, s9, s7
	s_xor_b32 s7, s7, s8
	s_sub_i32 s7, s7, s8
	.loc	1 82 37                         ; int8_utils_aot.py:82:37
	s_mul_i32 s7, s7, s53
	.loc	1 79 68                         ; int8_utils_aot.py:79:68
	v_writelane_b32 v255, s7, 13
	s_add_i32 s7, s51, 34
	s_xor_b32 s7, s7, s8
	s_mul_hi_u32 s9, s7, s89
	s_mul_i32 s9, s9, s90
	s_sub_i32 s7, s7, s9
	s_sub_i32 s9, s7, s90
	s_cmp_ge_u32 s7, s90
	s_cselect_b32 s7, s9, s7
	s_sub_i32 s9, s7, s90
	s_cmp_ge_u32 s7, s90
	s_cselect_b32 s7, s9, s7
	s_xor_b32 s7, s7, s8
	s_sub_i32 s7, s7, s8
	.loc	1 82 37                         ; int8_utils_aot.py:82:37
	s_mul_i32 s7, s7, s53
	.loc	1 79 68                         ; int8_utils_aot.py:79:68
	v_writelane_b32 v255, s7, 14
	;; [unrolled: 17-line block ×8, first 2 shown]
	s_add_i32 s7, s51, 20
	s_xor_b32 s7, s7, s8
	s_mul_hi_u32 s9, s7, s89
	s_mul_i32 s9, s9, s90
	s_sub_i32 s7, s7, s9
	s_sub_i32 s9, s7, s90
	s_cmp_ge_u32 s7, s90
	s_cselect_b32 s7, s9, s7
	s_sub_i32 s9, s7, s90
	s_cmp_ge_u32 s7, s90
	s_cselect_b32 s7, s9, s7
	s_add_i32 s9, s51, 18
	s_xor_b32 s9, s9, s8
	s_mul_hi_u32 s92, s9, s89
	s_mul_i32 s92, s92, s90
	s_xor_b32 s7, s7, s8
	s_sub_i32 s9, s9, s92
	s_sub_i32 s7, s7, s8
	;; [unrolled: 1-line block ×3, first 2 shown]
	s_cmp_ge_u32 s9, s90
	s_cselect_b32 s9, s92, s9
	s_sub_i32 s92, s9, s90
	s_cmp_ge_u32 s9, s90
	s_cselect_b32 s9, s92, s9
	s_xor_b32 s9, s9, s8
	s_sub_i32 s9, s9, s8
	.loc	1 82 37                         ; int8_utils_aot.py:82:37
	s_mul_i32 s9, s9, s53
	.loc	1 79 68                         ; int8_utils_aot.py:79:68
	v_writelane_b32 v255, s9, 21
	s_add_i32 s9, s51, 16
	s_xor_b32 s9, s9, s8
	s_mul_hi_u32 s92, s9, s89
	s_mul_i32 s92, s92, s90
	s_sub_i32 s9, s9, s92
	s_sub_i32 s92, s9, s90
	s_cmp_ge_u32 s9, s90
	s_cselect_b32 s9, s92, s9
	s_sub_i32 s92, s9, s90
	s_cmp_ge_u32 s9, s90
	s_cselect_b32 s9, s92, s9
	s_xor_b32 s9, s9, s8
	s_sub_i32 s9, s9, s8
	.loc	1 82 37                         ; int8_utils_aot.py:82:37
	s_mul_i32 s9, s9, s53
	.loc	1 79 68                         ; int8_utils_aot.py:79:68
	v_writelane_b32 v255, s9, 22
	s_add_i32 s9, s51, 14
	s_xor_b32 s9, s9, s8
	s_mul_hi_u32 s92, s9, s89
	s_mul_i32 s92, s92, s90
	s_sub_i32 s9, s9, s92
	s_sub_i32 s92, s9, s90
	s_cmp_ge_u32 s9, s90
	s_cselect_b32 s9, s92, s9
	s_sub_i32 s92, s9, s90
	s_cmp_ge_u32 s9, s90
	s_cselect_b32 s9, s92, s9
	s_xor_b32 s9, s9, s8
	s_sub_i32 vcc_hi, s9, s8
	s_add_i32 s9, s51, 12
	s_xor_b32 s9, s9, s8
	s_mul_hi_u32 s92, s9, s89
	s_mul_i32 s92, s92, s90
	s_sub_i32 s9, s9, s92
	s_sub_i32 s92, s9, s90
	s_cmp_ge_u32 s9, s90
	s_cselect_b32 s9, s92, s9
	s_sub_i32 s92, s9, s90
	s_cmp_ge_u32 s9, s90
	s_cselect_b32 s9, s92, s9
	s_xor_b32 s9, s9, s8
	s_sub_i32 s98, s9, s8
	s_add_i32 s9, s51, 10
	s_xor_b32 s9, s9, s8
	s_mul_hi_u32 s92, s9, s89
	s_mul_i32 s92, s92, s90
	s_sub_i32 s9, s9, s92
	s_sub_i32 s92, s9, s90
	s_cmp_ge_u32 s9, s90
	s_cselect_b32 s9, s92, s9
	s_sub_i32 s92, s9, s90
	s_cmp_ge_u32 s9, s90
	s_cselect_b32 s9, s92, s9
	s_xor_b32 s9, s9, s8
	s_sub_i32 s95, s9, s8
	;; [unrolled: 13-line block ×5, first 2 shown]
	s_add_i32 s9, s51, 2
	s_xor_b32 s9, s9, s8
	s_mul_hi_u32 s96, s9, s89
	s_mul_i32 s96, s96, s90
	s_sub_i32 s9, s9, s96
	s_sub_i32 s96, s9, s90
	s_cmp_ge_u32 s9, s90
	s_cselect_b32 s9, s96, s9
	s_sub_i32 s96, s9, s90
	s_cmp_ge_u32 s9, s90
	s_cselect_b32 s9, s96, s9
	s_xor_b32 s51, s51, s8
	s_mul_hi_u32 s89, s51, s89
	s_mul_i32 s89, s89, s90
	s_xor_b32 s9, s9, s8
	s_sub_i32 s51, s51, s89
	s_sub_i32 s9, s9, s8
	;; [unrolled: 1-line block ×3, first 2 shown]
	s_cmp_ge_u32 s51, s90
	s_cselect_b32 s51, s89, s51
	s_sub_i32 s89, s51, s90
	s_cmp_ge_u32 s51, s90
	s_cselect_b32 s51, s89, s51
	s_ashr_i32 s89, s52, 31
	s_abs_i32 s52, s52
	.loc	1 83 18                         ; int8_utils_aot.py:83:18
	v_ashrrev_i32_e32 v3, 31, v2
	v_cvt_f32_u32_e32 v32, s52
	v_accvgpr_write_b32 a75, v3
	v_accvgpr_write_b32 a74, v2
	v_and_b32_e32 v2, 15, v0
	v_lshlrev_b32_e32 v3, 3, v2
	v_lshrrev_b32_e32 v4, 2, v68
	v_lshl_or_b32 v1, v1, 7, v3
	v_rcp_iflag_f32_e32 v32, v32
	v_xor_b32_e32 v17, v1, v4
	v_lshrrev_b32_e32 v1, 1, v69
	v_and_b32_e32 v1, 56, v1
	v_xor_b32_e32 v1, v3, v1
	v_xor_b32_e32 v1, s15, v1
	v_mul_f32_e32 v32, 0x4f7ffffe, v32
	v_lshl_or_b32 v9, v109, 7, v1
	v_lshlrev_b32_e32 v1, 7, v2
	v_lshrrev_b32_e32 v2, 2, v69
	v_bfe_i32 v4, v0, 4, 1
	v_cvt_u32_f32_e32 v32, v32
	v_and_b32_e32 v2, 56, v2
	v_and_b32_e32 v4, 0x808, v4
	s_and_b32 s6, s6, 0x88
	v_xor_b32_e32 v2, v4, v2
	v_xor_b32_e32 v25, s6, v109
	s_lshl_b32 s6, s99, 6
	v_xor_b32_e32 v2, v2, v3
	v_or3_b32 v1, s6, v1, v2
	s_sub_i32 s6, 0, s52
	v_readfirstlane_b32 s90, v32
	s_mul_i32 s6, s6, s90
	s_mul_hi_u32 s6, s90, s6
	s_add_i32 s90, s90, s6
	.loc	1 90 22                         ; int8_utils_aot.py:90:22
	s_mul_i32 s6, s55, s88
	v_add_u32_e32 v32, s6, v70
	v_ashrrev_i32_e32 v33, 31, v32
	v_accvgpr_write_b32 a77, v33
	s_mul_i32 s6, s55, s87
	v_accvgpr_write_b32 a76, v32
	v_add_u32_e32 v32, s6, v70
	v_ashrrev_i32_e32 v33, 31, v32
	v_accvgpr_write_b32 a79, v33
	s_mul_i32 s6, s55, s86
	v_accvgpr_write_b32 a78, v32
	;; [unrolled: 5-line block ×62, first 2 shown]
	v_add_u32_e32 v32, s6, v70
	v_and_b32_e32 v0, 63, v0
	s_and_b32 s6, s91, 64
	v_or_b32_e32 v0, s6, v0
	v_and_b32_e32 v0, 0xffff, v0
	v_mul_lo_u32 v0, s54, v0
	v_readlane_b32 s6, v255, 2
	.loc	1 79 68                         ; int8_utils_aot.py:79:68
	s_xor_b32 s51, s51, s8
	s_sub_i32 s8, s51, s8
	.loc	1 90 22                         ; int8_utils_aot.py:90:22
	v_add_u32_e32 v198, s6, v0
	v_readlane_b32 s6, v255, 3
	.loc	1 82 37                         ; int8_utils_aot.py:82:37
	s_mul_i32 vcc_lo, vcc_lo, s53
	s_mul_i32 s7, s7, s53
	.loc	1 90 22                         ; int8_utils_aot.py:90:22
	v_add_u32_e32 v200, s6, v0
	v_readlane_b32 s6, v255, 4
	.loc	1 82 37                         ; int8_utils_aot.py:82:37
	s_mul_i32 vcc_hi, vcc_hi, s53
	s_mul_i32 s98, s98, s53
	.loc	1 90 22                         ; int8_utils_aot.py:90:22
	v_add_u32_e32 v202, s6, v0
	v_readlane_b32 s6, v255, 5
	.loc	1 82 37                         ; int8_utils_aot.py:82:37
	s_mul_i32 s95, s95, s53
	s_mul_i32 s94, s94, s53
	.loc	1 90 22                         ; int8_utils_aot.py:90:22
	v_add_u32_e32 v204, s6, v0
	v_readlane_b32 s6, v255, 6
	.loc	1 82 37                         ; int8_utils_aot.py:82:37
	s_mul_i32 s93, s93, s53
	;; [unrolled: 6-line block ×3, first 2 shown]
	s_mul_i32 s8, s8, s53
	.loc	1 90 22                         ; int8_utils_aot.py:90:22
	v_add_u32_e32 v208, s6, v0
	v_readlane_b32 s6, v255, 8
	v_ashrrev_i32_e32 v33, 31, v32
	v_xor_b32_e32 v26, 16, v25
	v_add_u32_e32 v210, s6, v0
	v_readlane_b32 s6, v255, 9
	v_xor_b32_e32 v27, 32, v25
	v_xor_b32_e32 v28, 48, v25
	v_add_u32_e32 v212, s6, v0
	v_readlane_b32 s6, v255, 10
	v_xor_b32_e32 v29, 64, v25
	;; [unrolled: 4-line block ×14, first 2 shown]
	v_accvgpr_write_b32 a201, v33
	v_add_u32_e32 v196, s97, v0
	v_add_u32_e32 v220, vcc_lo, v0
	v_add_u32_e32 v238, s7, v0
	v_add_u32_e32 v244, s6, v0
	v_add_u32_e32 v246, vcc_hi, v0
	v_add_u32_e32 v248, s98, v0
	v_add_u32_e32 v250, s95, v0
	;; [unrolled: 1-line block ×7, first 2 shown]
	v_mov_b32_e32 v240, 0
	s_ashr_i32 s51, s48, 31
	s_ashr_i32 s53, s11, 31
	v_accvgpr_write_b32 a200, v32
	v_ashrrev_i32_e32 v197, 31, v196
	v_ashrrev_i32_e32 v199, 31, v198
	;; [unrolled: 1-line block ×32, first 2 shown]
	v_add_u32_e32 v125, 0, v25
	v_add_u32_e32 v126, 0, v26
	;; [unrolled: 1-line block ×16, first 2 shown]
	s_mov_b32 s6, 0xc0c0004
	v_add_u32_e32 v141, 0, v9
	v_add_u32_e32 v142, 0, v10
	;; [unrolled: 1-line block ×16, first 2 shown]
	v_mov_b32_e32 v241, v240
	v_mov_b32_e32 v76, v240
	;; [unrolled: 1-line block ×31, first 2 shown]
	s_branch .LBB0_4
.LBB0_2:                                ;   in Loop: Header=BB0_4 Depth=1
	.loc	1 0 22 is_stmt 0                ; int8_utils_aot.py:0:22
	v_accvgpr_read_b32 v32, a76
	v_accvgpr_read_b32 v33, a77
	.loc	1 91 59 is_stmt 1               ; int8_utils_aot.py:91:59
	v_lshl_add_u64 v[32:33], s[4:5], 0, v[32:33]
	.loc	1 92 20                         ; int8_utils_aot.py:92:20
	global_load_ubyte v188, v[32:33], off
.LBB0_3:                                ;   in Loop: Header=BB0_4 Depth=1
	.loc	1 95 29                         ; int8_utils_aot.py:95:29
	s_abs_i32 s8, s33
	s_mul_hi_u32 s9, s8, s90
	s_mul_i32 s54, s9, s52
	s_ashr_i32 s7, s33, 31
	s_sub_i32 s8, s8, s54
	s_xor_b32 s7, s7, s89
	s_add_i32 s54, s9, 1
	s_sub_i32 s55, s8, s52
	s_cmp_ge_u32 s8, s52
	s_cselect_b32 s9, s54, s9
	s_cselect_b32 s8, s55, s8
	s_add_i32 s54, s9, 1
	s_cmp_ge_u32 s8, s52
	s_cselect_b32 s8, s54, s9
	s_xor_b32 s8, s8, s7
	s_sub_i32 s7, s8, s7
	.loc	1 96 42                         ; int8_utils_aot.py:96:42
	s_mul_i32 s8, s7, s49
	.loc	1 96 32 is_stmt 0               ; int8_utils_aot.py:96:32
	s_ashr_i32 s9, s8, 31
	v_accvgpr_read_b32 v32, a48
	v_accvgpr_read_b32 v34, a50
	s_lshl_b64 s[8:9], s[8:9], 2
	v_accvgpr_read_b32 v33, a49
	v_accvgpr_read_b32 v35, a51
	.loc	1 92 20 is_stmt 1               ; int8_utils_aot.py:92:20
	s_waitcnt vmcnt(0)
	v_lshlrev_b16_e32 v1, 8, v1
	.loc	1 96 32                         ; int8_utils_aot.py:96:32
	v_lshl_add_u64 v[32:33], v[32:33], 0, s[8:9]
	v_lshl_add_u64 v[34:35], v[34:35], 0, s[8:9]
	.loc	1 97 42                         ; int8_utils_aot.py:97:42
	s_mul_i32 s8, s7, s50
	.loc	1 92 20                         ; int8_utils_aot.py:92:20
	v_or_b32_e32 v0, v0, v1
	.loc	1 96 22                         ; int8_utils_aot.py:96:22
	global_load_dword v124, v[32:33], off
	global_load_dword v108, v[34:35], off
	.loc	1 97 32                         ; int8_utils_aot.py:97:32
	s_ashr_i32 s9, s8, 31
	v_accvgpr_read_b32 v32, a52
	v_accvgpr_read_b32 v34, a54
	;; [unrolled: 1-line block ×11, first 2 shown]
	.loc	1 92 20                         ; int8_utils_aot.py:92:20
	v_and_b32_e32 v0, 0xffff, v0
	v_perm_b32 v1, v2, v3, s6
	.loc	1 97 32                         ; int8_utils_aot.py:97:32
	s_lshl_b64 s[8:9], s[8:9], 2
	v_accvgpr_read_b32 v33, a53
	v_accvgpr_read_b32 v35, a55
	;; [unrolled: 1-line block ×11, first 2 shown]
	.loc	1 92 20                         ; int8_utils_aot.py:92:20
	v_lshl_or_b32 v0, v1, 16, v0
	v_perm_b32 v1, v4, v5, s6
	v_perm_b32 v2, v6, v7, s6
	.loc	1 97 32                         ; int8_utils_aot.py:97:32
	v_lshl_add_u64 v[32:33], v[32:33], 0, s[8:9]
	v_lshl_add_u64 v[34:35], v[34:35], 0, s[8:9]
	;; [unrolled: 1-line block ×16, first 2 shown]
	.loc	1 92 20                         ; int8_utils_aot.py:92:20
	v_lshl_or_b32 v1, v2, 16, v1
	.loc	1 97 22                         ; int8_utils_aot.py:97:22
	global_load_dword v110, v[32:33], off
	global_load_dword v111, v[34:35], off
	global_load_dword v112, v[36:37], off
	global_load_dword v113, v[38:39], off
	global_load_dword v114, v[40:41], off
	global_load_dword v115, v[42:43], off
	global_load_dword v116, v[44:45], off
	global_load_dword v117, v[46:47], off
	global_load_dword v118, v[48:49], off
	global_load_dword v119, v[50:51], off
	global_load_dword v120, v[52:53], off
	global_load_dword v121, v[54:55], off
	global_load_dword v122, v[56:57], off
	global_load_dword v123, v[58:59], off
	s_nop 0
	global_load_dword v106, v[106:107], off
	s_nop 0
	global_load_dword v107, v[190:191], off
	.loc	1 91 20                         ; int8_utils_aot.py:91:20
	s_waitcnt lgkmcnt(0)
	s_barrier
	ds_write_b8 v125, v189
	ds_write_b8 v125, a7 offset:2048
	ds_write_b8 v125, a15 offset:4096
	;; [unrolled: 1-line block ×31, first 2 shown]
	s_waitcnt lgkmcnt(0)
	s_barrier
	ds_read2st64_b64 v[190:193], v133 offset1:8
	ds_read2st64_b64 v[32:35], v134 offset1:8
	;; [unrolled: 1-line block ×8, first 2 shown]
	.loc	1 92 20                         ; int8_utils_aot.py:92:20
	s_waitcnt lgkmcnt(0)
	s_barrier
	ds_write_b64 v141, v[0:1]
	v_lshlrev_b16_e32 v0, 8, v9
	v_or_b32_e32 v0, v8, v0
	v_and_b32_e32 v0, 0xffff, v0
	v_perm_b32 v1, v10, v11, s6
	v_lshl_or_b32 v0, v1, 16, v0
	v_perm_b32 v1, v12, v13, s6
	v_perm_b32 v2, v14, v15, s6
	v_lshl_or_b32 v1, v2, 16, v1
	ds_write_b64 v142, v[0:1]
	v_lshlrev_b16_e32 v0, 8, v17
	v_or_b32_e32 v0, v16, v0
	v_and_b32_e32 v0, 0xffff, v0
	v_perm_b32 v1, v18, v19, s6
	v_lshl_or_b32 v0, v1, 16, v0
	v_perm_b32 v1, v20, v21, s6
	v_perm_b32 v2, v22, v23, s6
	v_lshl_or_b32 v1, v2, 16, v1
	;; [unrolled: 9-line block ×7, first 2 shown]
	ds_write_b64 v148, v[0:1]
	s_waitcnt lgkmcnt(0)
	s_barrier
	ds_read_b64 v[158:159], v149
	ds_read_b64 v[160:161], v150
	;; [unrolled: 1-line block ×4, first 2 shown]
	.loc	1 99 33                         ; int8_utils_aot.py:99:33
	s_waitcnt lgkmcnt(3)
	v_mfma_i32_32x32x16_i8 v[16:31], v[158:159], v[190:191], 0
	.loc	1 90 22                         ; int8_utils_aot.py:90:22
	s_add_u32 s4, s4, s11
	s_addc_u32 s5, s5, s53
	s_add_u32 s2, s2, s48
	s_addc_u32 s3, s3, s51
	s_add_i32 s10, s10, -1
	s_addk_i32 s33, 0x80
	s_addk_i32 s14, 0xff80
	.loc	1 99 33                         ; int8_utils_aot.py:99:33
	v_mfma_i32_32x32x16_i8 v[0:15], v[158:159], v[192:193], 0
	.loc	1 90 22                         ; int8_utils_aot.py:90:22
	s_cmp_lg_u32 s10, 0
	.loc	1 99 33                         ; int8_utils_aot.py:99:33
	s_waitcnt lgkmcnt(2)
	v_mfma_i32_32x32x16_i8 v[16:31], v[160:161], v[32:33], v[16:31]
	v_mfma_i32_32x32x16_i8 v[0:15], v[160:161], v[34:35], v[0:15]
	s_waitcnt lgkmcnt(1)
	v_mfma_i32_32x32x16_i8 v[16:31], v[162:163], v[36:37], v[16:31]
	v_mfma_i32_32x32x16_i8 v[0:15], v[162:163], v[38:39], v[0:15]
	s_waitcnt lgkmcnt(0)
	v_mfma_i32_32x32x16_i8 v[16:31], v[164:165], v[40:41], v[16:31]
	.loc	1 92 20                         ; int8_utils_aot.py:92:20
	ds_read_b64 v[32:33], v153
	ds_read_b64 v[36:37], v154
	;; [unrolled: 1-line block ×4, first 2 shown]
	.loc	1 99 33                         ; int8_utils_aot.py:99:33
	v_mfma_i32_32x32x16_i8 v[0:15], v[164:165], v[42:43], v[0:15]
	s_waitcnt lgkmcnt(3)
	v_mfma_i32_32x32x16_i8 v[16:31], v[32:33], v[44:45], v[16:31]
	v_mfma_i32_32x32x16_i8 v[0:15], v[32:33], v[46:47], v[0:15]
	s_waitcnt lgkmcnt(2)
	v_mfma_i32_32x32x16_i8 v[16:31], v[36:37], v[48:49], v[16:31]
	v_mfma_i32_32x32x16_i8 v[0:15], v[36:37], v[50:51], v[0:15]
	s_waitcnt lgkmcnt(1)
	v_mfma_i32_32x32x16_i8 v[16:31], v[40:41], v[52:53], v[16:31]
	v_mfma_i32_32x32x16_i8 v[0:15], v[40:41], v[54:55], v[0:15]
	s_waitcnt lgkmcnt(0)
	v_mfma_i32_32x32x16_i8 v[16:31], v[166:167], v[56:57], v[16:31]
	v_mfma_i32_32x32x16_i8 v[0:15], v[166:167], v[58:59], v[0:15]
	.loc	1 99 39 is_stmt 0               ; int8_utils_aot.py:99:39
	s_nop 9
	v_cvt_f32_i32_e32 v17, v17
	v_cvt_f32_i32_e32 v16, v16
	;; [unrolled: 1-line block ×32, first 2 shown]
	.loc	1 99 53                         ; int8_utils_aot.py:99:53
	s_waitcnt vmcnt(17)
	v_pk_mul_f32 v[16:17], v[124:125], v[16:17] op_sel_hi:[0,1]
	v_pk_mul_f32 v[18:19], v[124:125], v[18:19] op_sel_hi:[0,1]
	;; [unrolled: 1-line block ×8, first 2 shown]
	s_waitcnt vmcnt(16)
	v_pk_mul_f32 v[0:1], v[108:109], v[0:1] op_sel_hi:[0,1]
	v_pk_mul_f32 v[2:3], v[108:109], v[2:3] op_sel_hi:[0,1]
	;; [unrolled: 1-line block ×8, first 2 shown]
	.loc	1 99 23                         ; int8_utils_aot.py:99:23
	s_waitcnt vmcnt(14)
	v_pk_fma_f32 v[82:83], v[110:111], v[16:17], v[82:83]
	s_waitcnt vmcnt(12)
	v_pk_fma_f32 v[104:105], v[112:113], v[18:19], v[104:105]
	s_waitcnt vmcnt(10)
	v_pk_fma_f32 v[102:103], v[114:115], v[20:21], v[102:103]
	s_waitcnt vmcnt(8)
	v_pk_fma_f32 v[100:101], v[116:117], v[22:23], v[100:101]
	s_waitcnt vmcnt(6)
	v_pk_fma_f32 v[98:99], v[118:119], v[24:25], v[98:99]
	s_waitcnt vmcnt(4)
	v_pk_fma_f32 v[96:97], v[120:121], v[26:27], v[96:97]
	s_waitcnt vmcnt(2)
	v_pk_fma_f32 v[94:95], v[122:123], v[28:29], v[94:95]
	s_waitcnt vmcnt(0)
	v_pk_fma_f32 v[92:93], v[106:107], v[30:31], v[92:93]
	v_pk_fma_f32 v[90:91], v[110:111], v[0:1], v[90:91]
	v_pk_fma_f32 v[88:89], v[112:113], v[2:3], v[88:89]
	;; [unrolled: 1-line block ×8, first 2 shown]
	.loc	1 90 22 is_stmt 1               ; int8_utils_aot.py:90:22
	s_cbranch_scc0 .LBB0_197
.LBB0_4:                                ; =>This Inner Loop Header: Depth=1
	.loc	1 91 51                         ; int8_utils_aot.py:91:51
	v_cmp_gt_i32_e32 vcc, s14, v109
	v_mov_b32_e32 v189, 0
	.loc	1 91 20 is_stmt 0               ; int8_utils_aot.py:91:20
	s_and_saveexec_b64 s[8:9], vcc
	s_cbranch_execz .LBB0_6
; %bb.5:                                ;   in Loop: Header=BB0_4 Depth=1
	.loc	1 91 59                         ; int8_utils_aot.py:91:59
	v_lshl_add_u64 v[0:1], s[2:3], 0, v[74:75]
	.loc	1 91 20                         ; int8_utils_aot.py:91:20
	global_load_ubyte v189, v[0:1], off
.LBB0_6:                                ;   in Loop: Header=BB0_4 Depth=1
	.loc	1 0 20                          ; int8_utils_aot.py:0:20
	s_or_b64 exec, exec, s[8:9]
	v_accvgpr_write_b32 a0, 0
	v_accvgpr_write_b32 a1, 0
	.loc	1 91 20                         ; int8_utils_aot.py:91:20
	s_and_saveexec_b64 s[8:9], vcc
	s_cbranch_execz .LBB0_8
; %bb.7:                                ;   in Loop: Header=BB0_4 Depth=1
	.loc	1 91 59                         ; int8_utils_aot.py:91:59
	v_lshl_add_u64 v[0:1], s[2:3], 0, v[72:73]
	.loc	1 91 20                         ; int8_utils_aot.py:91:20
	global_load_ubyte a1, v[0:1], off
.LBB0_8:                                ;   in Loop: Header=BB0_4 Depth=1
	.loc	1 0 20                          ; int8_utils_aot.py:0:20
	s_or_b64 exec, exec, s[8:9]
	.loc	1 91 20                         ; int8_utils_aot.py:91:20
	s_and_saveexec_b64 s[8:9], vcc
	s_cbranch_execz .LBB0_10
; %bb.9:                                ;   in Loop: Header=BB0_4 Depth=1
	.loc	1 91 59                         ; int8_utils_aot.py:91:59
	v_lshl_add_u64 v[0:1], s[2:3], 0, v[70:71]
	.loc	1 91 20                         ; int8_utils_aot.py:91:20
	global_load_ubyte a0, v[0:1], off
.LBB0_10:                               ;   in Loop: Header=BB0_4 Depth=1
	.loc	1 0 20                          ; int8_utils_aot.py:0:20
	s_or_b64 exec, exec, s[8:9]
	v_accvgpr_write_b32 a2, 0
	v_accvgpr_write_b32 a3, 0
	.loc	1 91 20                         ; int8_utils_aot.py:91:20
	s_and_saveexec_b64 s[8:9], vcc
	s_cbranch_execz .LBB0_12
; %bb.11:                               ;   in Loop: Header=BB0_4 Depth=1
	.loc	1 91 59                         ; int8_utils_aot.py:91:59
	v_lshl_add_u64 v[0:1], s[2:3], 0, v[68:69]
	.loc	1 91 20                         ; int8_utils_aot.py:91:20
	global_load_ubyte a3, v[0:1], off
.LBB0_12:                               ;   in Loop: Header=BB0_4 Depth=1
	.loc	1 0 20                          ; int8_utils_aot.py:0:20
	s_or_b64 exec, exec, s[8:9]
	.loc	1 91 20                         ; int8_utils_aot.py:91:20
	s_and_saveexec_b64 s[8:9], vcc
	s_cbranch_execz .LBB0_14
; %bb.13:                               ;   in Loop: Header=BB0_4 Depth=1
	.loc	1 91 59                         ; int8_utils_aot.py:91:59
	v_lshl_add_u64 v[0:1], s[2:3], 0, v[252:253]
	.loc	1 91 20                         ; int8_utils_aot.py:91:20
	global_load_ubyte a2, v[0:1], off
.LBB0_14:                               ;   in Loop: Header=BB0_4 Depth=1
	.loc	1 0 20                          ; int8_utils_aot.py:0:20
	s_or_b64 exec, exec, s[8:9]
	v_accvgpr_write_b32 a4, 0
	v_accvgpr_write_b32 a5, 0
	.loc	1 91 20                         ; int8_utils_aot.py:91:20
	s_and_saveexec_b64 s[8:9], vcc
	s_cbranch_execz .LBB0_16
; %bb.15:                               ;   in Loop: Header=BB0_4 Depth=1
	.loc	1 91 59                         ; int8_utils_aot.py:91:59
	v_lshl_add_u64 v[0:1], s[2:3], 0, v[250:251]
	.loc	1 91 20                         ; int8_utils_aot.py:91:20
	global_load_ubyte a5, v[0:1], off
.LBB0_16:                               ;   in Loop: Header=BB0_4 Depth=1
	.loc	1 0 20                          ; int8_utils_aot.py:0:20
	s_or_b64 exec, exec, s[8:9]
	.loc	1 91 20                         ; int8_utils_aot.py:91:20
	s_and_saveexec_b64 s[8:9], vcc
	s_cbranch_execz .LBB0_18
; %bb.17:                               ;   in Loop: Header=BB0_4 Depth=1
	.loc	1 91 59                         ; int8_utils_aot.py:91:59
	v_lshl_add_u64 v[0:1], s[2:3], 0, v[248:249]
	.loc	1 91 20                         ; int8_utils_aot.py:91:20
	global_load_ubyte a4, v[0:1], off
.LBB0_18:                               ;   in Loop: Header=BB0_4 Depth=1
	;; [unrolled: 24-line block ×13, first 2 shown]
	.loc	1 0 20                          ; int8_utils_aot.py:0:20
	s_or_b64 exec, exec, s[8:9]
	v_accvgpr_write_b32 a28, 0
	v_accvgpr_write_b32 a29, 0
	.loc	1 91 20                         ; int8_utils_aot.py:91:20
	s_and_saveexec_b64 s[8:9], vcc
	s_cbranch_execnz .LBB0_129
; %bb.63:                               ;   in Loop: Header=BB0_4 Depth=1
	.loc	1 0 20                          ; int8_utils_aot.py:0:20
	s_or_b64 exec, exec, s[8:9]
	.loc	1 91 20                         ; int8_utils_aot.py:91:20
	s_and_saveexec_b64 s[8:9], vcc
	s_cbranch_execnz .LBB0_130
.LBB0_64:                               ;   in Loop: Header=BB0_4 Depth=1
	.loc	1 0 20                          ; int8_utils_aot.py:0:20
	s_or_b64 exec, exec, s[8:9]
	v_accvgpr_write_b32 a30, 0
	.loc	1 91 20                         ; int8_utils_aot.py:91:20
	s_and_saveexec_b64 s[8:9], vcc
	s_cbranch_execnz .LBB0_131
.LBB0_65:                               ;   in Loop: Header=BB0_4 Depth=1
	.loc	1 0 20                          ; int8_utils_aot.py:0:20
	s_or_b64 exec, exec, s[8:9]
	.loc	1 92 51 is_stmt 1               ; int8_utils_aot.py:92:51
	s_cmp_ge_i32 s15, s14
	.loc	1 92 20 is_stmt 0               ; int8_utils_aot.py:92:20
	s_cbranch_scc1 .LBB0_132
.LBB0_66:                               ;   in Loop: Header=BB0_4 Depth=1
	.loc	1 0 20                          ; int8_utils_aot.py:0:20
	v_accvgpr_read_b32 v0, a74
	v_accvgpr_read_b32 v1, a75
	.loc	1 91 59 is_stmt 1               ; int8_utils_aot.py:91:59
	v_lshl_add_u64 v[0:1], s[4:5], 0, v[0:1]
	.loc	1 92 20                         ; int8_utils_aot.py:92:20
	global_load_ubyte v0, v[0:1], off
	.loc	1 92 51 is_stmt 0               ; int8_utils_aot.py:92:51
	s_cmp_ge_i32 s16, s14
	.loc	1 92 20                         ; int8_utils_aot.py:92:20
	s_cbranch_scc0 .LBB0_133
.LBB0_67:                               ;   in Loop: Header=BB0_4 Depth=1
	.loc	1 0 20                          ; int8_utils_aot.py:0:20
	v_mov_b32_e32 v1, 0
	.loc	1 92 51                         ; int8_utils_aot.py:92:51
	s_cmp_ge_i32 s17, s14
	.loc	1 92 20                         ; int8_utils_aot.py:92:20
	s_cbranch_scc0 .LBB0_134
.LBB0_68:                               ;   in Loop: Header=BB0_4 Depth=1
	.loc	1 0 20                          ; int8_utils_aot.py:0:20
	v_mov_b32_e32 v2, 0
	.loc	1 92 51                         ; int8_utils_aot.py:92:51
	s_cmp_ge_i32 s18, s14
	.loc	1 92 20                         ; int8_utils_aot.py:92:20
	s_cbranch_scc0 .LBB0_135
.LBB0_69:                               ;   in Loop: Header=BB0_4 Depth=1
	.loc	1 0 20                          ; int8_utils_aot.py:0:20
	v_mov_b32_e32 v3, 0
	.loc	1 92 51                         ; int8_utils_aot.py:92:51
	s_cmp_ge_i32 s19, s14
	.loc	1 92 20                         ; int8_utils_aot.py:92:20
	s_cbranch_scc0 .LBB0_136
.LBB0_70:                               ;   in Loop: Header=BB0_4 Depth=1
	.loc	1 0 20                          ; int8_utils_aot.py:0:20
	v_mov_b32_e32 v4, 0
	.loc	1 92 51                         ; int8_utils_aot.py:92:51
	s_cmp_ge_i32 s20, s14
	.loc	1 92 20                         ; int8_utils_aot.py:92:20
	s_cbranch_scc0 .LBB0_137
.LBB0_71:                               ;   in Loop: Header=BB0_4 Depth=1
	.loc	1 0 20                          ; int8_utils_aot.py:0:20
	v_mov_b32_e32 v5, 0
	.loc	1 92 51                         ; int8_utils_aot.py:92:51
	s_cmp_ge_i32 s21, s14
	.loc	1 92 20                         ; int8_utils_aot.py:92:20
	s_cbranch_scc0 .LBB0_138
.LBB0_72:                               ;   in Loop: Header=BB0_4 Depth=1
	.loc	1 0 20                          ; int8_utils_aot.py:0:20
	v_mov_b32_e32 v6, 0
	.loc	1 92 51                         ; int8_utils_aot.py:92:51
	s_cmp_ge_i32 s22, s14
	.loc	1 92 20                         ; int8_utils_aot.py:92:20
	s_cbranch_scc0 .LBB0_139
.LBB0_73:                               ;   in Loop: Header=BB0_4 Depth=1
	.loc	1 0 20                          ; int8_utils_aot.py:0:20
	v_mov_b32_e32 v7, 0
	.loc	1 92 51                         ; int8_utils_aot.py:92:51
	s_cmp_ge_i32 s23, s14
	.loc	1 92 20                         ; int8_utils_aot.py:92:20
	s_cbranch_scc0 .LBB0_140
.LBB0_74:                               ;   in Loop: Header=BB0_4 Depth=1
	.loc	1 0 20                          ; int8_utils_aot.py:0:20
	v_mov_b32_e32 v8, 0
	.loc	1 92 51                         ; int8_utils_aot.py:92:51
	s_cmp_ge_i32 s24, s14
	.loc	1 92 20                         ; int8_utils_aot.py:92:20
	s_cbranch_scc0 .LBB0_141
.LBB0_75:                               ;   in Loop: Header=BB0_4 Depth=1
	.loc	1 0 20                          ; int8_utils_aot.py:0:20
	v_mov_b32_e32 v9, 0
	.loc	1 92 51                         ; int8_utils_aot.py:92:51
	s_cmp_ge_i32 s25, s14
	.loc	1 92 20                         ; int8_utils_aot.py:92:20
	s_cbranch_scc0 .LBB0_142
.LBB0_76:                               ;   in Loop: Header=BB0_4 Depth=1
	.loc	1 0 20                          ; int8_utils_aot.py:0:20
	v_mov_b32_e32 v10, 0
	.loc	1 92 51                         ; int8_utils_aot.py:92:51
	s_cmp_ge_i32 s26, s14
	.loc	1 92 20                         ; int8_utils_aot.py:92:20
	s_cbranch_scc0 .LBB0_143
.LBB0_77:                               ;   in Loop: Header=BB0_4 Depth=1
	.loc	1 0 20                          ; int8_utils_aot.py:0:20
	v_mov_b32_e32 v11, 0
	.loc	1 92 51                         ; int8_utils_aot.py:92:51
	s_cmp_ge_i32 s27, s14
	.loc	1 92 20                         ; int8_utils_aot.py:92:20
	s_cbranch_scc0 .LBB0_144
.LBB0_78:                               ;   in Loop: Header=BB0_4 Depth=1
	.loc	1 0 20                          ; int8_utils_aot.py:0:20
	v_mov_b32_e32 v12, 0
	.loc	1 92 51                         ; int8_utils_aot.py:92:51
	s_cmp_ge_i32 s28, s14
	.loc	1 92 20                         ; int8_utils_aot.py:92:20
	s_cbranch_scc0 .LBB0_145
.LBB0_79:                               ;   in Loop: Header=BB0_4 Depth=1
	.loc	1 0 20                          ; int8_utils_aot.py:0:20
	v_mov_b32_e32 v13, 0
	.loc	1 92 51                         ; int8_utils_aot.py:92:51
	s_cmp_ge_i32 s29, s14
	.loc	1 92 20                         ; int8_utils_aot.py:92:20
	s_cbranch_scc0 .LBB0_146
.LBB0_80:                               ;   in Loop: Header=BB0_4 Depth=1
	.loc	1 0 20                          ; int8_utils_aot.py:0:20
	v_mov_b32_e32 v14, 0
	.loc	1 92 51                         ; int8_utils_aot.py:92:51
	s_cmp_ge_i32 s30, s14
	.loc	1 92 20                         ; int8_utils_aot.py:92:20
	s_cbranch_scc0 .LBB0_147
.LBB0_81:                               ;   in Loop: Header=BB0_4 Depth=1
	.loc	1 0 20                          ; int8_utils_aot.py:0:20
	v_mov_b32_e32 v15, 0
	.loc	1 92 51                         ; int8_utils_aot.py:92:51
	s_cmp_ge_i32 s31, s14
	.loc	1 92 20                         ; int8_utils_aot.py:92:20
	s_cbranch_scc0 .LBB0_148
.LBB0_82:                               ;   in Loop: Header=BB0_4 Depth=1
	.loc	1 0 20                          ; int8_utils_aot.py:0:20
	v_mov_b32_e32 v16, 0
	.loc	1 92 51                         ; int8_utils_aot.py:92:51
	s_cmp_ge_i32 s34, s14
	.loc	1 92 20                         ; int8_utils_aot.py:92:20
	s_cbranch_scc0 .LBB0_149
.LBB0_83:                               ;   in Loop: Header=BB0_4 Depth=1
	.loc	1 0 20                          ; int8_utils_aot.py:0:20
	v_mov_b32_e32 v17, 0
	.loc	1 92 51                         ; int8_utils_aot.py:92:51
	s_cmp_ge_i32 s35, s14
	.loc	1 92 20                         ; int8_utils_aot.py:92:20
	s_cbranch_scc0 .LBB0_150
.LBB0_84:                               ;   in Loop: Header=BB0_4 Depth=1
	.loc	1 0 20                          ; int8_utils_aot.py:0:20
	v_mov_b32_e32 v18, 0
	.loc	1 92 51                         ; int8_utils_aot.py:92:51
	s_cmp_ge_i32 s36, s14
	.loc	1 92 20                         ; int8_utils_aot.py:92:20
	s_cbranch_scc0 .LBB0_151
.LBB0_85:                               ;   in Loop: Header=BB0_4 Depth=1
	.loc	1 0 20                          ; int8_utils_aot.py:0:20
	v_mov_b32_e32 v19, 0
	.loc	1 92 51                         ; int8_utils_aot.py:92:51
	s_cmp_ge_i32 s37, s14
	.loc	1 92 20                         ; int8_utils_aot.py:92:20
	s_cbranch_scc0 .LBB0_152
.LBB0_86:                               ;   in Loop: Header=BB0_4 Depth=1
	.loc	1 0 20                          ; int8_utils_aot.py:0:20
	v_mov_b32_e32 v20, 0
	.loc	1 92 51                         ; int8_utils_aot.py:92:51
	s_cmp_ge_i32 s38, s14
	.loc	1 92 20                         ; int8_utils_aot.py:92:20
	s_cbranch_scc0 .LBB0_153
.LBB0_87:                               ;   in Loop: Header=BB0_4 Depth=1
	.loc	1 0 20                          ; int8_utils_aot.py:0:20
	v_mov_b32_e32 v21, 0
	.loc	1 92 51                         ; int8_utils_aot.py:92:51
	s_cmp_ge_i32 s39, s14
	.loc	1 92 20                         ; int8_utils_aot.py:92:20
	s_cbranch_scc0 .LBB0_154
.LBB0_88:                               ;   in Loop: Header=BB0_4 Depth=1
	.loc	1 0 20                          ; int8_utils_aot.py:0:20
	v_mov_b32_e32 v22, 0
	.loc	1 92 51                         ; int8_utils_aot.py:92:51
	s_cmp_ge_i32 s40, s14
	.loc	1 92 20                         ; int8_utils_aot.py:92:20
	s_cbranch_scc0 .LBB0_155
.LBB0_89:                               ;   in Loop: Header=BB0_4 Depth=1
	.loc	1 0 20                          ; int8_utils_aot.py:0:20
	v_mov_b32_e32 v23, 0
	.loc	1 92 51                         ; int8_utils_aot.py:92:51
	s_cmp_ge_i32 s41, s14
	.loc	1 92 20                         ; int8_utils_aot.py:92:20
	s_cbranch_scc0 .LBB0_156
.LBB0_90:                               ;   in Loop: Header=BB0_4 Depth=1
	.loc	1 0 20                          ; int8_utils_aot.py:0:20
	v_mov_b32_e32 v24, 0
	.loc	1 92 51                         ; int8_utils_aot.py:92:51
	s_cmp_ge_i32 s42, s14
	.loc	1 92 20                         ; int8_utils_aot.py:92:20
	s_cbranch_scc0 .LBB0_157
.LBB0_91:                               ;   in Loop: Header=BB0_4 Depth=1
	.loc	1 0 20                          ; int8_utils_aot.py:0:20
	v_mov_b32_e32 v25, 0
	.loc	1 92 51                         ; int8_utils_aot.py:92:51
	s_cmp_ge_i32 s43, s14
	.loc	1 92 20                         ; int8_utils_aot.py:92:20
	s_cbranch_scc0 .LBB0_158
.LBB0_92:                               ;   in Loop: Header=BB0_4 Depth=1
	.loc	1 0 20                          ; int8_utils_aot.py:0:20
	v_mov_b32_e32 v26, 0
	.loc	1 92 51                         ; int8_utils_aot.py:92:51
	s_cmp_ge_i32 s44, s14
	.loc	1 92 20                         ; int8_utils_aot.py:92:20
	s_cbranch_scc0 .LBB0_159
.LBB0_93:                               ;   in Loop: Header=BB0_4 Depth=1
	.loc	1 0 20                          ; int8_utils_aot.py:0:20
	v_mov_b32_e32 v27, 0
	.loc	1 92 51                         ; int8_utils_aot.py:92:51
	s_cmp_ge_i32 s45, s14
	.loc	1 92 20                         ; int8_utils_aot.py:92:20
	s_cbranch_scc0 .LBB0_160
.LBB0_94:                               ;   in Loop: Header=BB0_4 Depth=1
	.loc	1 0 20                          ; int8_utils_aot.py:0:20
	v_mov_b32_e32 v28, 0
	.loc	1 92 51                         ; int8_utils_aot.py:92:51
	s_cmp_ge_i32 s46, s14
	.loc	1 92 20                         ; int8_utils_aot.py:92:20
	s_cbranch_scc0 .LBB0_161
.LBB0_95:                               ;   in Loop: Header=BB0_4 Depth=1
	.loc	1 0 20                          ; int8_utils_aot.py:0:20
	v_mov_b32_e32 v29, 0
	.loc	1 92 51                         ; int8_utils_aot.py:92:51
	s_cmp_ge_i32 s47, s14
	.loc	1 92 20                         ; int8_utils_aot.py:92:20
	s_cbranch_scc0 .LBB0_162
.LBB0_96:                               ;   in Loop: Header=BB0_4 Depth=1
	.loc	1 0 20                          ; int8_utils_aot.py:0:20
	v_mov_b32_e32 v30, 0
	.loc	1 92 51                         ; int8_utils_aot.py:92:51
	s_cmp_ge_i32 s56, s14
	.loc	1 92 20                         ; int8_utils_aot.py:92:20
	s_cbranch_scc0 .LBB0_163
.LBB0_97:                               ;   in Loop: Header=BB0_4 Depth=1
	.loc	1 0 20                          ; int8_utils_aot.py:0:20
	v_mov_b32_e32 v31, 0
	.loc	1 92 51                         ; int8_utils_aot.py:92:51
	s_cmp_ge_i32 s57, s14
	.loc	1 92 20                         ; int8_utils_aot.py:92:20
	s_cbranch_scc0 .LBB0_164
.LBB0_98:                               ;   in Loop: Header=BB0_4 Depth=1
	.loc	1 0 20                          ; int8_utils_aot.py:0:20
	v_mov_b32_e32 v157, 0
	.loc	1 92 51                         ; int8_utils_aot.py:92:51
	s_cmp_ge_i32 s58, s14
	.loc	1 92 20                         ; int8_utils_aot.py:92:20
	s_cbranch_scc0 .LBB0_165
.LBB0_99:                               ;   in Loop: Header=BB0_4 Depth=1
	.loc	1 0 20                          ; int8_utils_aot.py:0:20
	v_mov_b32_e32 v158, 0
	.loc	1 92 51                         ; int8_utils_aot.py:92:51
	s_cmp_ge_i32 s59, s14
	.loc	1 92 20                         ; int8_utils_aot.py:92:20
	s_cbranch_scc0 .LBB0_166
.LBB0_100:                              ;   in Loop: Header=BB0_4 Depth=1
	.loc	1 0 20                          ; int8_utils_aot.py:0:20
	v_mov_b32_e32 v159, 0
	.loc	1 92 51                         ; int8_utils_aot.py:92:51
	s_cmp_ge_i32 s60, s14
	.loc	1 92 20                         ; int8_utils_aot.py:92:20
	s_cbranch_scc0 .LBB0_167
.LBB0_101:                              ;   in Loop: Header=BB0_4 Depth=1
	.loc	1 0 20                          ; int8_utils_aot.py:0:20
	v_mov_b32_e32 v160, 0
	.loc	1 92 51                         ; int8_utils_aot.py:92:51
	s_cmp_ge_i32 s61, s14
	.loc	1 92 20                         ; int8_utils_aot.py:92:20
	s_cbranch_scc0 .LBB0_168
.LBB0_102:                              ;   in Loop: Header=BB0_4 Depth=1
	.loc	1 0 20                          ; int8_utils_aot.py:0:20
	v_mov_b32_e32 v161, 0
	.loc	1 92 51                         ; int8_utils_aot.py:92:51
	s_cmp_ge_i32 s62, s14
	.loc	1 92 20                         ; int8_utils_aot.py:92:20
	s_cbranch_scc0 .LBB0_169
.LBB0_103:                              ;   in Loop: Header=BB0_4 Depth=1
	.loc	1 0 20                          ; int8_utils_aot.py:0:20
	v_mov_b32_e32 v162, 0
	.loc	1 92 51                         ; int8_utils_aot.py:92:51
	s_cmp_ge_i32 s63, s14
	.loc	1 92 20                         ; int8_utils_aot.py:92:20
	s_cbranch_scc0 .LBB0_170
.LBB0_104:                              ;   in Loop: Header=BB0_4 Depth=1
	.loc	1 0 20                          ; int8_utils_aot.py:0:20
	v_mov_b32_e32 v163, 0
	.loc	1 92 51                         ; int8_utils_aot.py:92:51
	s_cmp_ge_i32 s64, s14
	.loc	1 92 20                         ; int8_utils_aot.py:92:20
	s_cbranch_scc0 .LBB0_171
.LBB0_105:                              ;   in Loop: Header=BB0_4 Depth=1
	.loc	1 0 20                          ; int8_utils_aot.py:0:20
	v_mov_b32_e32 v164, 0
	.loc	1 92 51                         ; int8_utils_aot.py:92:51
	s_cmp_ge_i32 s65, s14
	.loc	1 92 20                         ; int8_utils_aot.py:92:20
	s_cbranch_scc0 .LBB0_172
.LBB0_106:                              ;   in Loop: Header=BB0_4 Depth=1
	.loc	1 0 20                          ; int8_utils_aot.py:0:20
	v_mov_b32_e32 v165, 0
	.loc	1 92 51                         ; int8_utils_aot.py:92:51
	s_cmp_ge_i32 s66, s14
	.loc	1 92 20                         ; int8_utils_aot.py:92:20
	s_cbranch_scc0 .LBB0_173
.LBB0_107:                              ;   in Loop: Header=BB0_4 Depth=1
	.loc	1 0 20                          ; int8_utils_aot.py:0:20
	v_mov_b32_e32 v166, 0
	.loc	1 92 51                         ; int8_utils_aot.py:92:51
	s_cmp_ge_i32 s67, s14
	.loc	1 92 20                         ; int8_utils_aot.py:92:20
	s_cbranch_scc0 .LBB0_174
.LBB0_108:                              ;   in Loop: Header=BB0_4 Depth=1
	.loc	1 0 20                          ; int8_utils_aot.py:0:20
	v_mov_b32_e32 v167, 0
	.loc	1 92 51                         ; int8_utils_aot.py:92:51
	s_cmp_ge_i32 s68, s14
	.loc	1 92 20                         ; int8_utils_aot.py:92:20
	s_cbranch_scc0 .LBB0_175
.LBB0_109:                              ;   in Loop: Header=BB0_4 Depth=1
	.loc	1 0 20                          ; int8_utils_aot.py:0:20
	v_mov_b32_e32 v168, 0
	.loc	1 92 51                         ; int8_utils_aot.py:92:51
	s_cmp_ge_i32 s69, s14
	.loc	1 92 20                         ; int8_utils_aot.py:92:20
	s_cbranch_scc0 .LBB0_176
.LBB0_110:                              ;   in Loop: Header=BB0_4 Depth=1
	.loc	1 0 20                          ; int8_utils_aot.py:0:20
	v_mov_b32_e32 v169, 0
	.loc	1 92 51                         ; int8_utils_aot.py:92:51
	s_cmp_ge_i32 s70, s14
	.loc	1 92 20                         ; int8_utils_aot.py:92:20
	s_cbranch_scc0 .LBB0_177
.LBB0_111:                              ;   in Loop: Header=BB0_4 Depth=1
	.loc	1 0 20                          ; int8_utils_aot.py:0:20
	v_mov_b32_e32 v170, 0
	.loc	1 92 51                         ; int8_utils_aot.py:92:51
	s_cmp_ge_i32 s71, s14
	.loc	1 92 20                         ; int8_utils_aot.py:92:20
	s_cbranch_scc0 .LBB0_178
.LBB0_112:                              ;   in Loop: Header=BB0_4 Depth=1
	.loc	1 0 20                          ; int8_utils_aot.py:0:20
	v_mov_b32_e32 v171, 0
	.loc	1 92 51                         ; int8_utils_aot.py:92:51
	s_cmp_ge_i32 s72, s14
	.loc	1 92 20                         ; int8_utils_aot.py:92:20
	s_cbranch_scc0 .LBB0_179
.LBB0_113:                              ;   in Loop: Header=BB0_4 Depth=1
	.loc	1 0 20                          ; int8_utils_aot.py:0:20
	v_mov_b32_e32 v172, 0
	.loc	1 92 51                         ; int8_utils_aot.py:92:51
	s_cmp_ge_i32 s73, s14
	.loc	1 92 20                         ; int8_utils_aot.py:92:20
	s_cbranch_scc0 .LBB0_180
.LBB0_114:                              ;   in Loop: Header=BB0_4 Depth=1
	.loc	1 0 20                          ; int8_utils_aot.py:0:20
	v_mov_b32_e32 v173, 0
	.loc	1 92 51                         ; int8_utils_aot.py:92:51
	s_cmp_ge_i32 s74, s14
	.loc	1 92 20                         ; int8_utils_aot.py:92:20
	s_cbranch_scc0 .LBB0_181
.LBB0_115:                              ;   in Loop: Header=BB0_4 Depth=1
	.loc	1 0 20                          ; int8_utils_aot.py:0:20
	v_mov_b32_e32 v174, 0
	.loc	1 92 51                         ; int8_utils_aot.py:92:51
	s_cmp_ge_i32 s75, s14
	.loc	1 92 20                         ; int8_utils_aot.py:92:20
	s_cbranch_scc0 .LBB0_182
.LBB0_116:                              ;   in Loop: Header=BB0_4 Depth=1
	.loc	1 0 20                          ; int8_utils_aot.py:0:20
	v_mov_b32_e32 v175, 0
	.loc	1 92 51                         ; int8_utils_aot.py:92:51
	s_cmp_ge_i32 s76, s14
	.loc	1 92 20                         ; int8_utils_aot.py:92:20
	s_cbranch_scc0 .LBB0_183
.LBB0_117:                              ;   in Loop: Header=BB0_4 Depth=1
	.loc	1 0 20                          ; int8_utils_aot.py:0:20
	v_mov_b32_e32 v176, 0
	.loc	1 92 51                         ; int8_utils_aot.py:92:51
	s_cmp_ge_i32 s77, s14
	.loc	1 92 20                         ; int8_utils_aot.py:92:20
	s_cbranch_scc0 .LBB0_184
.LBB0_118:                              ;   in Loop: Header=BB0_4 Depth=1
	.loc	1 0 20                          ; int8_utils_aot.py:0:20
	v_mov_b32_e32 v177, 0
	.loc	1 92 51                         ; int8_utils_aot.py:92:51
	s_cmp_ge_i32 s78, s14
	.loc	1 92 20                         ; int8_utils_aot.py:92:20
	s_cbranch_scc0 .LBB0_185
.LBB0_119:                              ;   in Loop: Header=BB0_4 Depth=1
	.loc	1 0 20                          ; int8_utils_aot.py:0:20
	v_mov_b32_e32 v178, 0
	.loc	1 92 51                         ; int8_utils_aot.py:92:51
	s_cmp_ge_i32 s79, s14
	.loc	1 92 20                         ; int8_utils_aot.py:92:20
	s_cbranch_scc0 .LBB0_186
.LBB0_120:                              ;   in Loop: Header=BB0_4 Depth=1
	.loc	1 0 20                          ; int8_utils_aot.py:0:20
	v_mov_b32_e32 v179, 0
	.loc	1 92 51                         ; int8_utils_aot.py:92:51
	s_cmp_ge_i32 s80, s14
	.loc	1 92 20                         ; int8_utils_aot.py:92:20
	s_cbranch_scc0 .LBB0_187
.LBB0_121:                              ;   in Loop: Header=BB0_4 Depth=1
	.loc	1 0 20                          ; int8_utils_aot.py:0:20
	v_mov_b32_e32 v180, 0
	.loc	1 92 51                         ; int8_utils_aot.py:92:51
	s_cmp_ge_i32 s81, s14
	.loc	1 92 20                         ; int8_utils_aot.py:92:20
	s_cbranch_scc0 .LBB0_188
.LBB0_122:                              ;   in Loop: Header=BB0_4 Depth=1
	.loc	1 0 20                          ; int8_utils_aot.py:0:20
	v_mov_b32_e32 v181, 0
	.loc	1 92 51                         ; int8_utils_aot.py:92:51
	s_cmp_ge_i32 s82, s14
	.loc	1 92 20                         ; int8_utils_aot.py:92:20
	s_cbranch_scc0 .LBB0_189
.LBB0_123:                              ;   in Loop: Header=BB0_4 Depth=1
	.loc	1 0 20                          ; int8_utils_aot.py:0:20
	v_mov_b32_e32 v182, 0
	.loc	1 92 51                         ; int8_utils_aot.py:92:51
	s_cmp_ge_i32 s83, s14
	.loc	1 92 20                         ; int8_utils_aot.py:92:20
	s_cbranch_scc0 .LBB0_190
.LBB0_124:                              ;   in Loop: Header=BB0_4 Depth=1
	.loc	1 0 20                          ; int8_utils_aot.py:0:20
	v_mov_b32_e32 v183, 0
	.loc	1 92 51                         ; int8_utils_aot.py:92:51
	s_cmp_ge_i32 s84, s14
	.loc	1 92 20                         ; int8_utils_aot.py:92:20
	s_cbranch_scc0 .LBB0_191
.LBB0_125:                              ;   in Loop: Header=BB0_4 Depth=1
	.loc	1 0 20                          ; int8_utils_aot.py:0:20
	v_mov_b32_e32 v184, 0
	.loc	1 92 51                         ; int8_utils_aot.py:92:51
	s_cmp_ge_i32 s85, s14
	.loc	1 92 20                         ; int8_utils_aot.py:92:20
	s_cbranch_scc0 .LBB0_192
.LBB0_126:                              ;   in Loop: Header=BB0_4 Depth=1
	.loc	1 0 20                          ; int8_utils_aot.py:0:20
	v_mov_b32_e32 v185, 0
	.loc	1 92 51                         ; int8_utils_aot.py:92:51
	s_cmp_ge_i32 s86, s14
	.loc	1 92 20                         ; int8_utils_aot.py:92:20
	s_cbranch_scc0 .LBB0_193
.LBB0_127:                              ;   in Loop: Header=BB0_4 Depth=1
	.loc	1 0 20                          ; int8_utils_aot.py:0:20
	v_mov_b32_e32 v186, 0
	.loc	1 92 51                         ; int8_utils_aot.py:92:51
	s_cmp_ge_i32 s87, s14
	.loc	1 92 20                         ; int8_utils_aot.py:92:20
	s_cbranch_scc0 .LBB0_194
.LBB0_128:                              ;   in Loop: Header=BB0_4 Depth=1
	.loc	1 0 20                          ; int8_utils_aot.py:0:20
	v_mov_b32_e32 v187, 0
	.loc	1 92 51                         ; int8_utils_aot.py:92:51
	s_cmp_ge_i32 s88, s14
	.loc	1 92 20                         ; int8_utils_aot.py:92:20
	s_cbranch_scc0 .LBB0_2
	s_branch .LBB0_195
.LBB0_129:                              ;   in Loop: Header=BB0_4 Depth=1
	.loc	1 91 59 is_stmt 1               ; int8_utils_aot.py:91:59
	v_lshl_add_u64 v[0:1], s[2:3], 0, v[200:201]
	.loc	1 91 20 is_stmt 0               ; int8_utils_aot.py:91:20
	global_load_ubyte a29, v[0:1], off
	s_or_b64 exec, exec, s[8:9]
	s_and_saveexec_b64 s[8:9], vcc
	s_cbranch_execz .LBB0_64
.LBB0_130:                              ;   in Loop: Header=BB0_4 Depth=1
	.loc	1 91 59                         ; int8_utils_aot.py:91:59
	v_lshl_add_u64 v[0:1], s[2:3], 0, v[198:199]
	.loc	1 91 20                         ; int8_utils_aot.py:91:20
	global_load_ubyte a28, v[0:1], off
	s_or_b64 exec, exec, s[8:9]
	v_accvgpr_write_b32 a30, 0
	s_and_saveexec_b64 s[8:9], vcc
	s_cbranch_execz .LBB0_65
.LBB0_131:                              ;   in Loop: Header=BB0_4 Depth=1
	.loc	1 91 59                         ; int8_utils_aot.py:91:59
	v_lshl_add_u64 v[0:1], s[2:3], 0, v[196:197]
	.loc	1 91 20                         ; int8_utils_aot.py:91:20
	global_load_ubyte a30, v[0:1], off
	s_or_b64 exec, exec, s[8:9]
	.loc	1 92 51 is_stmt 1               ; int8_utils_aot.py:92:51
	s_cmp_ge_i32 s15, s14
	.loc	1 92 20 is_stmt 0               ; int8_utils_aot.py:92:20
	s_cbranch_scc0 .LBB0_66
.LBB0_132:                              ;   in Loop: Header=BB0_4 Depth=1
	.loc	1 0 20                          ; int8_utils_aot.py:0:20
	v_mov_b32_e32 v0, 0
	.loc	1 92 51                         ; int8_utils_aot.py:92:51
	s_cmp_ge_i32 s16, s14
	.loc	1 92 20                         ; int8_utils_aot.py:92:20
	s_cbranch_scc1 .LBB0_67
.LBB0_133:                              ;   in Loop: Header=BB0_4 Depth=1
	.loc	1 0 20                          ; int8_utils_aot.py:0:20
	v_accvgpr_read_b32 v2, a200
	v_accvgpr_read_b32 v3, a201
	.loc	1 91 59 is_stmt 1               ; int8_utils_aot.py:91:59
	v_lshl_add_u64 v[2:3], s[4:5], 0, v[2:3]
	.loc	1 92 20                         ; int8_utils_aot.py:92:20
	global_load_ubyte v1, v[2:3], off
	.loc	1 92 51 is_stmt 0               ; int8_utils_aot.py:92:51
	s_cmp_ge_i32 s17, s14
	.loc	1 92 20                         ; int8_utils_aot.py:92:20
	s_cbranch_scc1 .LBB0_68
.LBB0_134:                              ;   in Loop: Header=BB0_4 Depth=1
	.loc	1 0 20                          ; int8_utils_aot.py:0:20
	v_accvgpr_read_b32 v2, a198
	v_accvgpr_read_b32 v3, a199
	.loc	1 91 59 is_stmt 1               ; int8_utils_aot.py:91:59
	v_lshl_add_u64 v[2:3], s[4:5], 0, v[2:3]
	.loc	1 92 20                         ; int8_utils_aot.py:92:20
	global_load_ubyte v2, v[2:3], off
	.loc	1 92 51 is_stmt 0               ; int8_utils_aot.py:92:51
	s_cmp_ge_i32 s18, s14
	.loc	1 92 20                         ; int8_utils_aot.py:92:20
	s_cbranch_scc1 .LBB0_69
.LBB0_135:                              ;   in Loop: Header=BB0_4 Depth=1
	.loc	1 0 20                          ; int8_utils_aot.py:0:20
	v_accvgpr_read_b32 v4, a196
	v_accvgpr_read_b32 v5, a197
	.loc	1 91 59 is_stmt 1               ; int8_utils_aot.py:91:59
	v_lshl_add_u64 v[4:5], s[4:5], 0, v[4:5]
	.loc	1 92 20                         ; int8_utils_aot.py:92:20
	global_load_ubyte v3, v[4:5], off
	.loc	1 92 51 is_stmt 0               ; int8_utils_aot.py:92:51
	s_cmp_ge_i32 s19, s14
	.loc	1 92 20                         ; int8_utils_aot.py:92:20
	s_cbranch_scc1 .LBB0_70
.LBB0_136:                              ;   in Loop: Header=BB0_4 Depth=1
	.loc	1 0 20                          ; int8_utils_aot.py:0:20
	v_accvgpr_read_b32 v4, a194
	v_accvgpr_read_b32 v5, a195
	.loc	1 91 59 is_stmt 1               ; int8_utils_aot.py:91:59
	v_lshl_add_u64 v[4:5], s[4:5], 0, v[4:5]
	.loc	1 92 20                         ; int8_utils_aot.py:92:20
	global_load_ubyte v4, v[4:5], off
	.loc	1 92 51 is_stmt 0               ; int8_utils_aot.py:92:51
	s_cmp_ge_i32 s20, s14
	.loc	1 92 20                         ; int8_utils_aot.py:92:20
	s_cbranch_scc1 .LBB0_71
.LBB0_137:                              ;   in Loop: Header=BB0_4 Depth=1
	.loc	1 0 20                          ; int8_utils_aot.py:0:20
	v_accvgpr_read_b32 v6, a192
	v_accvgpr_read_b32 v7, a193
	.loc	1 91 59 is_stmt 1               ; int8_utils_aot.py:91:59
	v_lshl_add_u64 v[6:7], s[4:5], 0, v[6:7]
	.loc	1 92 20                         ; int8_utils_aot.py:92:20
	global_load_ubyte v5, v[6:7], off
	.loc	1 92 51 is_stmt 0               ; int8_utils_aot.py:92:51
	s_cmp_ge_i32 s21, s14
	.loc	1 92 20                         ; int8_utils_aot.py:92:20
	s_cbranch_scc1 .LBB0_72
.LBB0_138:                              ;   in Loop: Header=BB0_4 Depth=1
	.loc	1 0 20                          ; int8_utils_aot.py:0:20
	v_accvgpr_read_b32 v6, a190
	v_accvgpr_read_b32 v7, a191
	.loc	1 91 59 is_stmt 1               ; int8_utils_aot.py:91:59
	v_lshl_add_u64 v[6:7], s[4:5], 0, v[6:7]
	.loc	1 92 20                         ; int8_utils_aot.py:92:20
	global_load_ubyte v6, v[6:7], off
	.loc	1 92 51 is_stmt 0               ; int8_utils_aot.py:92:51
	s_cmp_ge_i32 s22, s14
	.loc	1 92 20                         ; int8_utils_aot.py:92:20
	s_cbranch_scc1 .LBB0_73
.LBB0_139:                              ;   in Loop: Header=BB0_4 Depth=1
	.loc	1 0 20                          ; int8_utils_aot.py:0:20
	v_accvgpr_read_b32 v8, a188
	v_accvgpr_read_b32 v9, a189
	.loc	1 91 59 is_stmt 1               ; int8_utils_aot.py:91:59
	v_lshl_add_u64 v[8:9], s[4:5], 0, v[8:9]
	.loc	1 92 20                         ; int8_utils_aot.py:92:20
	global_load_ubyte v7, v[8:9], off
	.loc	1 92 51 is_stmt 0               ; int8_utils_aot.py:92:51
	s_cmp_ge_i32 s23, s14
	.loc	1 92 20                         ; int8_utils_aot.py:92:20
	s_cbranch_scc1 .LBB0_74
.LBB0_140:                              ;   in Loop: Header=BB0_4 Depth=1
	.loc	1 0 20                          ; int8_utils_aot.py:0:20
	v_accvgpr_read_b32 v8, a186
	v_accvgpr_read_b32 v9, a187
	.loc	1 91 59 is_stmt 1               ; int8_utils_aot.py:91:59
	v_lshl_add_u64 v[8:9], s[4:5], 0, v[8:9]
	.loc	1 92 20                         ; int8_utils_aot.py:92:20
	global_load_ubyte v8, v[8:9], off
	.loc	1 92 51 is_stmt 0               ; int8_utils_aot.py:92:51
	s_cmp_ge_i32 s24, s14
	.loc	1 92 20                         ; int8_utils_aot.py:92:20
	s_cbranch_scc1 .LBB0_75
.LBB0_141:                              ;   in Loop: Header=BB0_4 Depth=1
	.loc	1 0 20                          ; int8_utils_aot.py:0:20
	v_accvgpr_read_b32 v10, a184
	v_accvgpr_read_b32 v11, a185
	.loc	1 91 59 is_stmt 1               ; int8_utils_aot.py:91:59
	v_lshl_add_u64 v[10:11], s[4:5], 0, v[10:11]
	.loc	1 92 20                         ; int8_utils_aot.py:92:20
	global_load_ubyte v9, v[10:11], off
	.loc	1 92 51 is_stmt 0               ; int8_utils_aot.py:92:51
	s_cmp_ge_i32 s25, s14
	.loc	1 92 20                         ; int8_utils_aot.py:92:20
	s_cbranch_scc1 .LBB0_76
.LBB0_142:                              ;   in Loop: Header=BB0_4 Depth=1
	.loc	1 0 20                          ; int8_utils_aot.py:0:20
	v_accvgpr_read_b32 v10, a182
	v_accvgpr_read_b32 v11, a183
	.loc	1 91 59 is_stmt 1               ; int8_utils_aot.py:91:59
	v_lshl_add_u64 v[10:11], s[4:5], 0, v[10:11]
	.loc	1 92 20                         ; int8_utils_aot.py:92:20
	global_load_ubyte v10, v[10:11], off
	.loc	1 92 51 is_stmt 0               ; int8_utils_aot.py:92:51
	s_cmp_ge_i32 s26, s14
	.loc	1 92 20                         ; int8_utils_aot.py:92:20
	s_cbranch_scc1 .LBB0_77
.LBB0_143:                              ;   in Loop: Header=BB0_4 Depth=1
	.loc	1 0 20                          ; int8_utils_aot.py:0:20
	v_accvgpr_read_b32 v12, a180
	v_accvgpr_read_b32 v13, a181
	.loc	1 91 59 is_stmt 1               ; int8_utils_aot.py:91:59
	v_lshl_add_u64 v[12:13], s[4:5], 0, v[12:13]
	.loc	1 92 20                         ; int8_utils_aot.py:92:20
	global_load_ubyte v11, v[12:13], off
	.loc	1 92 51 is_stmt 0               ; int8_utils_aot.py:92:51
	s_cmp_ge_i32 s27, s14
	.loc	1 92 20                         ; int8_utils_aot.py:92:20
	s_cbranch_scc1 .LBB0_78
.LBB0_144:                              ;   in Loop: Header=BB0_4 Depth=1
	.loc	1 0 20                          ; int8_utils_aot.py:0:20
	v_accvgpr_read_b32 v12, a178
	v_accvgpr_read_b32 v13, a179
	.loc	1 91 59 is_stmt 1               ; int8_utils_aot.py:91:59
	v_lshl_add_u64 v[12:13], s[4:5], 0, v[12:13]
	.loc	1 92 20                         ; int8_utils_aot.py:92:20
	global_load_ubyte v12, v[12:13], off
	.loc	1 92 51 is_stmt 0               ; int8_utils_aot.py:92:51
	s_cmp_ge_i32 s28, s14
	.loc	1 92 20                         ; int8_utils_aot.py:92:20
	s_cbranch_scc1 .LBB0_79
.LBB0_145:                              ;   in Loop: Header=BB0_4 Depth=1
	.loc	1 0 20                          ; int8_utils_aot.py:0:20
	v_accvgpr_read_b32 v14, a176
	v_accvgpr_read_b32 v15, a177
	.loc	1 91 59 is_stmt 1               ; int8_utils_aot.py:91:59
	v_lshl_add_u64 v[14:15], s[4:5], 0, v[14:15]
	.loc	1 92 20                         ; int8_utils_aot.py:92:20
	global_load_ubyte v13, v[14:15], off
	.loc	1 92 51 is_stmt 0               ; int8_utils_aot.py:92:51
	s_cmp_ge_i32 s29, s14
	.loc	1 92 20                         ; int8_utils_aot.py:92:20
	s_cbranch_scc1 .LBB0_80
.LBB0_146:                              ;   in Loop: Header=BB0_4 Depth=1
	.loc	1 0 20                          ; int8_utils_aot.py:0:20
	v_accvgpr_read_b32 v14, a174
	v_accvgpr_read_b32 v15, a175
	.loc	1 91 59 is_stmt 1               ; int8_utils_aot.py:91:59
	v_lshl_add_u64 v[14:15], s[4:5], 0, v[14:15]
	.loc	1 92 20                         ; int8_utils_aot.py:92:20
	global_load_ubyte v14, v[14:15], off
	.loc	1 92 51 is_stmt 0               ; int8_utils_aot.py:92:51
	s_cmp_ge_i32 s30, s14
	.loc	1 92 20                         ; int8_utils_aot.py:92:20
	s_cbranch_scc1 .LBB0_81
.LBB0_147:                              ;   in Loop: Header=BB0_4 Depth=1
	.loc	1 0 20                          ; int8_utils_aot.py:0:20
	v_accvgpr_read_b32 v16, a172
	v_accvgpr_read_b32 v17, a173
	.loc	1 91 59 is_stmt 1               ; int8_utils_aot.py:91:59
	v_lshl_add_u64 v[16:17], s[4:5], 0, v[16:17]
	.loc	1 92 20                         ; int8_utils_aot.py:92:20
	global_load_ubyte v15, v[16:17], off
	.loc	1 92 51 is_stmt 0               ; int8_utils_aot.py:92:51
	s_cmp_ge_i32 s31, s14
	.loc	1 92 20                         ; int8_utils_aot.py:92:20
	s_cbranch_scc1 .LBB0_82
.LBB0_148:                              ;   in Loop: Header=BB0_4 Depth=1
	.loc	1 0 20                          ; int8_utils_aot.py:0:20
	v_accvgpr_read_b32 v16, a170
	v_accvgpr_read_b32 v17, a171
	.loc	1 91 59 is_stmt 1               ; int8_utils_aot.py:91:59
	v_lshl_add_u64 v[16:17], s[4:5], 0, v[16:17]
	.loc	1 92 20                         ; int8_utils_aot.py:92:20
	global_load_ubyte v16, v[16:17], off
	.loc	1 92 51 is_stmt 0               ; int8_utils_aot.py:92:51
	s_cmp_ge_i32 s34, s14
	.loc	1 92 20                         ; int8_utils_aot.py:92:20
	s_cbranch_scc1 .LBB0_83
.LBB0_149:                              ;   in Loop: Header=BB0_4 Depth=1
	.loc	1 0 20                          ; int8_utils_aot.py:0:20
	v_accvgpr_read_b32 v18, a168
	v_accvgpr_read_b32 v19, a169
	.loc	1 91 59 is_stmt 1               ; int8_utils_aot.py:91:59
	v_lshl_add_u64 v[18:19], s[4:5], 0, v[18:19]
	.loc	1 92 20                         ; int8_utils_aot.py:92:20
	global_load_ubyte v17, v[18:19], off
	.loc	1 92 51 is_stmt 0               ; int8_utils_aot.py:92:51
	s_cmp_ge_i32 s35, s14
	.loc	1 92 20                         ; int8_utils_aot.py:92:20
	s_cbranch_scc1 .LBB0_84
.LBB0_150:                              ;   in Loop: Header=BB0_4 Depth=1
	.loc	1 0 20                          ; int8_utils_aot.py:0:20
	v_accvgpr_read_b32 v18, a166
	v_accvgpr_read_b32 v19, a167
	.loc	1 91 59 is_stmt 1               ; int8_utils_aot.py:91:59
	v_lshl_add_u64 v[18:19], s[4:5], 0, v[18:19]
	.loc	1 92 20                         ; int8_utils_aot.py:92:20
	global_load_ubyte v18, v[18:19], off
	.loc	1 92 51 is_stmt 0               ; int8_utils_aot.py:92:51
	s_cmp_ge_i32 s36, s14
	.loc	1 92 20                         ; int8_utils_aot.py:92:20
	s_cbranch_scc1 .LBB0_85
.LBB0_151:                              ;   in Loop: Header=BB0_4 Depth=1
	.loc	1 0 20                          ; int8_utils_aot.py:0:20
	v_accvgpr_read_b32 v20, a164
	v_accvgpr_read_b32 v21, a165
	.loc	1 91 59 is_stmt 1               ; int8_utils_aot.py:91:59
	v_lshl_add_u64 v[20:21], s[4:5], 0, v[20:21]
	.loc	1 92 20                         ; int8_utils_aot.py:92:20
	global_load_ubyte v19, v[20:21], off
	.loc	1 92 51 is_stmt 0               ; int8_utils_aot.py:92:51
	s_cmp_ge_i32 s37, s14
	.loc	1 92 20                         ; int8_utils_aot.py:92:20
	s_cbranch_scc1 .LBB0_86
.LBB0_152:                              ;   in Loop: Header=BB0_4 Depth=1
	.loc	1 0 20                          ; int8_utils_aot.py:0:20
	v_accvgpr_read_b32 v20, a162
	v_accvgpr_read_b32 v21, a163
	.loc	1 91 59 is_stmt 1               ; int8_utils_aot.py:91:59
	v_lshl_add_u64 v[20:21], s[4:5], 0, v[20:21]
	.loc	1 92 20                         ; int8_utils_aot.py:92:20
	global_load_ubyte v20, v[20:21], off
	.loc	1 92 51 is_stmt 0               ; int8_utils_aot.py:92:51
	s_cmp_ge_i32 s38, s14
	.loc	1 92 20                         ; int8_utils_aot.py:92:20
	s_cbranch_scc1 .LBB0_87
.LBB0_153:                              ;   in Loop: Header=BB0_4 Depth=1
	.loc	1 0 20                          ; int8_utils_aot.py:0:20
	v_accvgpr_read_b32 v22, a160
	v_accvgpr_read_b32 v23, a161
	.loc	1 91 59 is_stmt 1               ; int8_utils_aot.py:91:59
	v_lshl_add_u64 v[22:23], s[4:5], 0, v[22:23]
	.loc	1 92 20                         ; int8_utils_aot.py:92:20
	global_load_ubyte v21, v[22:23], off
	.loc	1 92 51 is_stmt 0               ; int8_utils_aot.py:92:51
	s_cmp_ge_i32 s39, s14
	.loc	1 92 20                         ; int8_utils_aot.py:92:20
	s_cbranch_scc1 .LBB0_88
.LBB0_154:                              ;   in Loop: Header=BB0_4 Depth=1
	.loc	1 0 20                          ; int8_utils_aot.py:0:20
	v_accvgpr_read_b32 v22, a158
	v_accvgpr_read_b32 v23, a159
	.loc	1 91 59 is_stmt 1               ; int8_utils_aot.py:91:59
	v_lshl_add_u64 v[22:23], s[4:5], 0, v[22:23]
	.loc	1 92 20                         ; int8_utils_aot.py:92:20
	global_load_ubyte v22, v[22:23], off
	.loc	1 92 51 is_stmt 0               ; int8_utils_aot.py:92:51
	s_cmp_ge_i32 s40, s14
	.loc	1 92 20                         ; int8_utils_aot.py:92:20
	s_cbranch_scc1 .LBB0_89
.LBB0_155:                              ;   in Loop: Header=BB0_4 Depth=1
	.loc	1 0 20                          ; int8_utils_aot.py:0:20
	v_accvgpr_read_b32 v24, a156
	v_accvgpr_read_b32 v25, a157
	.loc	1 91 59 is_stmt 1               ; int8_utils_aot.py:91:59
	v_lshl_add_u64 v[24:25], s[4:5], 0, v[24:25]
	.loc	1 92 20                         ; int8_utils_aot.py:92:20
	global_load_ubyte v23, v[24:25], off
	.loc	1 92 51 is_stmt 0               ; int8_utils_aot.py:92:51
	s_cmp_ge_i32 s41, s14
	.loc	1 92 20                         ; int8_utils_aot.py:92:20
	s_cbranch_scc1 .LBB0_90
.LBB0_156:                              ;   in Loop: Header=BB0_4 Depth=1
	.loc	1 0 20                          ; int8_utils_aot.py:0:20
	v_accvgpr_read_b32 v24, a154
	v_accvgpr_read_b32 v25, a155
	.loc	1 91 59 is_stmt 1               ; int8_utils_aot.py:91:59
	v_lshl_add_u64 v[24:25], s[4:5], 0, v[24:25]
	.loc	1 92 20                         ; int8_utils_aot.py:92:20
	global_load_ubyte v24, v[24:25], off
	.loc	1 92 51 is_stmt 0               ; int8_utils_aot.py:92:51
	s_cmp_ge_i32 s42, s14
	.loc	1 92 20                         ; int8_utils_aot.py:92:20
	s_cbranch_scc1 .LBB0_91
.LBB0_157:                              ;   in Loop: Header=BB0_4 Depth=1
	.loc	1 0 20                          ; int8_utils_aot.py:0:20
	v_accvgpr_read_b32 v26, a152
	v_accvgpr_read_b32 v27, a153
	.loc	1 91 59 is_stmt 1               ; int8_utils_aot.py:91:59
	v_lshl_add_u64 v[26:27], s[4:5], 0, v[26:27]
	.loc	1 92 20                         ; int8_utils_aot.py:92:20
	global_load_ubyte v25, v[26:27], off
	.loc	1 92 51 is_stmt 0               ; int8_utils_aot.py:92:51
	s_cmp_ge_i32 s43, s14
	.loc	1 92 20                         ; int8_utils_aot.py:92:20
	s_cbranch_scc1 .LBB0_92
.LBB0_158:                              ;   in Loop: Header=BB0_4 Depth=1
	.loc	1 0 20                          ; int8_utils_aot.py:0:20
	v_accvgpr_read_b32 v26, a150
	v_accvgpr_read_b32 v27, a151
	.loc	1 91 59 is_stmt 1               ; int8_utils_aot.py:91:59
	v_lshl_add_u64 v[26:27], s[4:5], 0, v[26:27]
	.loc	1 92 20                         ; int8_utils_aot.py:92:20
	global_load_ubyte v26, v[26:27], off
	.loc	1 92 51 is_stmt 0               ; int8_utils_aot.py:92:51
	s_cmp_ge_i32 s44, s14
	.loc	1 92 20                         ; int8_utils_aot.py:92:20
	s_cbranch_scc1 .LBB0_93
.LBB0_159:                              ;   in Loop: Header=BB0_4 Depth=1
	.loc	1 0 20                          ; int8_utils_aot.py:0:20
	v_accvgpr_read_b32 v28, a148
	v_accvgpr_read_b32 v29, a149
	.loc	1 91 59 is_stmt 1               ; int8_utils_aot.py:91:59
	v_lshl_add_u64 v[28:29], s[4:5], 0, v[28:29]
	.loc	1 92 20                         ; int8_utils_aot.py:92:20
	global_load_ubyte v27, v[28:29], off
	.loc	1 92 51 is_stmt 0               ; int8_utils_aot.py:92:51
	s_cmp_ge_i32 s45, s14
	.loc	1 92 20                         ; int8_utils_aot.py:92:20
	s_cbranch_scc1 .LBB0_94
.LBB0_160:                              ;   in Loop: Header=BB0_4 Depth=1
	.loc	1 0 20                          ; int8_utils_aot.py:0:20
	v_accvgpr_read_b32 v28, a146
	v_accvgpr_read_b32 v29, a147
	.loc	1 91 59 is_stmt 1               ; int8_utils_aot.py:91:59
	v_lshl_add_u64 v[28:29], s[4:5], 0, v[28:29]
	.loc	1 92 20                         ; int8_utils_aot.py:92:20
	global_load_ubyte v28, v[28:29], off
	.loc	1 92 51 is_stmt 0               ; int8_utils_aot.py:92:51
	s_cmp_ge_i32 s46, s14
	.loc	1 92 20                         ; int8_utils_aot.py:92:20
	s_cbranch_scc1 .LBB0_95
.LBB0_161:                              ;   in Loop: Header=BB0_4 Depth=1
	.loc	1 0 20                          ; int8_utils_aot.py:0:20
	v_accvgpr_read_b32 v30, a144
	v_accvgpr_read_b32 v31, a145
	.loc	1 91 59 is_stmt 1               ; int8_utils_aot.py:91:59
	v_lshl_add_u64 v[30:31], s[4:5], 0, v[30:31]
	.loc	1 92 20                         ; int8_utils_aot.py:92:20
	global_load_ubyte v29, v[30:31], off
	.loc	1 92 51 is_stmt 0               ; int8_utils_aot.py:92:51
	s_cmp_ge_i32 s47, s14
	.loc	1 92 20                         ; int8_utils_aot.py:92:20
	s_cbranch_scc1 .LBB0_96
.LBB0_162:                              ;   in Loop: Header=BB0_4 Depth=1
	.loc	1 0 20                          ; int8_utils_aot.py:0:20
	v_accvgpr_read_b32 v30, a142
	v_accvgpr_read_b32 v31, a143
	.loc	1 91 59 is_stmt 1               ; int8_utils_aot.py:91:59
	v_lshl_add_u64 v[30:31], s[4:5], 0, v[30:31]
	.loc	1 92 20                         ; int8_utils_aot.py:92:20
	global_load_ubyte v30, v[30:31], off
	.loc	1 92 51 is_stmt 0               ; int8_utils_aot.py:92:51
	s_cmp_ge_i32 s56, s14
	.loc	1 92 20                         ; int8_utils_aot.py:92:20
	s_cbranch_scc1 .LBB0_97
.LBB0_163:                              ;   in Loop: Header=BB0_4 Depth=1
	.loc	1 0 20                          ; int8_utils_aot.py:0:20
	v_accvgpr_read_b32 v32, a140
	v_accvgpr_read_b32 v33, a141
	.loc	1 91 59 is_stmt 1               ; int8_utils_aot.py:91:59
	v_lshl_add_u64 v[32:33], s[4:5], 0, v[32:33]
	.loc	1 92 20                         ; int8_utils_aot.py:92:20
	global_load_ubyte v31, v[32:33], off
	.loc	1 92 51 is_stmt 0               ; int8_utils_aot.py:92:51
	s_cmp_ge_i32 s57, s14
	.loc	1 92 20                         ; int8_utils_aot.py:92:20
	s_cbranch_scc1 .LBB0_98
.LBB0_164:                              ;   in Loop: Header=BB0_4 Depth=1
	.loc	1 0 20                          ; int8_utils_aot.py:0:20
	v_accvgpr_read_b32 v32, a138
	v_accvgpr_read_b32 v33, a139
	.loc	1 91 59 is_stmt 1               ; int8_utils_aot.py:91:59
	v_lshl_add_u64 v[32:33], s[4:5], 0, v[32:33]
	.loc	1 92 20                         ; int8_utils_aot.py:92:20
	global_load_ubyte v157, v[32:33], off
	.loc	1 92 51 is_stmt 0               ; int8_utils_aot.py:92:51
	s_cmp_ge_i32 s58, s14
	.loc	1 92 20                         ; int8_utils_aot.py:92:20
	s_cbranch_scc1 .LBB0_99
.LBB0_165:                              ;   in Loop: Header=BB0_4 Depth=1
	.loc	1 0 20                          ; int8_utils_aot.py:0:20
	v_accvgpr_read_b32 v32, a136
	v_accvgpr_read_b32 v33, a137
	.loc	1 91 59 is_stmt 1               ; int8_utils_aot.py:91:59
	v_lshl_add_u64 v[32:33], s[4:5], 0, v[32:33]
	.loc	1 92 20                         ; int8_utils_aot.py:92:20
	global_load_ubyte v158, v[32:33], off
	.loc	1 92 51 is_stmt 0               ; int8_utils_aot.py:92:51
	s_cmp_ge_i32 s59, s14
	.loc	1 92 20                         ; int8_utils_aot.py:92:20
	s_cbranch_scc1 .LBB0_100
.LBB0_166:                              ;   in Loop: Header=BB0_4 Depth=1
	.loc	1 0 20                          ; int8_utils_aot.py:0:20
	v_accvgpr_read_b32 v32, a134
	v_accvgpr_read_b32 v33, a135
	.loc	1 91 59 is_stmt 1               ; int8_utils_aot.py:91:59
	v_lshl_add_u64 v[32:33], s[4:5], 0, v[32:33]
	.loc	1 92 20                         ; int8_utils_aot.py:92:20
	global_load_ubyte v159, v[32:33], off
	.loc	1 92 51 is_stmt 0               ; int8_utils_aot.py:92:51
	s_cmp_ge_i32 s60, s14
	.loc	1 92 20                         ; int8_utils_aot.py:92:20
	s_cbranch_scc1 .LBB0_101
.LBB0_167:                              ;   in Loop: Header=BB0_4 Depth=1
	.loc	1 0 20                          ; int8_utils_aot.py:0:20
	v_accvgpr_read_b32 v32, a132
	v_accvgpr_read_b32 v33, a133
	.loc	1 91 59 is_stmt 1               ; int8_utils_aot.py:91:59
	v_lshl_add_u64 v[32:33], s[4:5], 0, v[32:33]
	.loc	1 92 20                         ; int8_utils_aot.py:92:20
	global_load_ubyte v160, v[32:33], off
	.loc	1 92 51 is_stmt 0               ; int8_utils_aot.py:92:51
	s_cmp_ge_i32 s61, s14
	.loc	1 92 20                         ; int8_utils_aot.py:92:20
	s_cbranch_scc1 .LBB0_102
.LBB0_168:                              ;   in Loop: Header=BB0_4 Depth=1
	.loc	1 0 20                          ; int8_utils_aot.py:0:20
	v_accvgpr_read_b32 v32, a130
	v_accvgpr_read_b32 v33, a131
	.loc	1 91 59 is_stmt 1               ; int8_utils_aot.py:91:59
	v_lshl_add_u64 v[32:33], s[4:5], 0, v[32:33]
	.loc	1 92 20                         ; int8_utils_aot.py:92:20
	global_load_ubyte v161, v[32:33], off
	.loc	1 92 51 is_stmt 0               ; int8_utils_aot.py:92:51
	s_cmp_ge_i32 s62, s14
	.loc	1 92 20                         ; int8_utils_aot.py:92:20
	s_cbranch_scc1 .LBB0_103
.LBB0_169:                              ;   in Loop: Header=BB0_4 Depth=1
	.loc	1 0 20                          ; int8_utils_aot.py:0:20
	v_accvgpr_read_b32 v32, a128
	v_accvgpr_read_b32 v33, a129
	.loc	1 91 59 is_stmt 1               ; int8_utils_aot.py:91:59
	v_lshl_add_u64 v[32:33], s[4:5], 0, v[32:33]
	.loc	1 92 20                         ; int8_utils_aot.py:92:20
	global_load_ubyte v162, v[32:33], off
	.loc	1 92 51 is_stmt 0               ; int8_utils_aot.py:92:51
	s_cmp_ge_i32 s63, s14
	.loc	1 92 20                         ; int8_utils_aot.py:92:20
	s_cbranch_scc1 .LBB0_104
.LBB0_170:                              ;   in Loop: Header=BB0_4 Depth=1
	.loc	1 0 20                          ; int8_utils_aot.py:0:20
	v_accvgpr_read_b32 v32, a126
	v_accvgpr_read_b32 v33, a127
	.loc	1 91 59 is_stmt 1               ; int8_utils_aot.py:91:59
	v_lshl_add_u64 v[32:33], s[4:5], 0, v[32:33]
	.loc	1 92 20                         ; int8_utils_aot.py:92:20
	global_load_ubyte v163, v[32:33], off
	.loc	1 92 51 is_stmt 0               ; int8_utils_aot.py:92:51
	s_cmp_ge_i32 s64, s14
	.loc	1 92 20                         ; int8_utils_aot.py:92:20
	s_cbranch_scc1 .LBB0_105
.LBB0_171:                              ;   in Loop: Header=BB0_4 Depth=1
	.loc	1 0 20                          ; int8_utils_aot.py:0:20
	v_accvgpr_read_b32 v32, a124
	v_accvgpr_read_b32 v33, a125
	.loc	1 91 59 is_stmt 1               ; int8_utils_aot.py:91:59
	v_lshl_add_u64 v[32:33], s[4:5], 0, v[32:33]
	.loc	1 92 20                         ; int8_utils_aot.py:92:20
	global_load_ubyte v164, v[32:33], off
	.loc	1 92 51 is_stmt 0               ; int8_utils_aot.py:92:51
	s_cmp_ge_i32 s65, s14
	.loc	1 92 20                         ; int8_utils_aot.py:92:20
	s_cbranch_scc1 .LBB0_106
.LBB0_172:                              ;   in Loop: Header=BB0_4 Depth=1
	.loc	1 0 20                          ; int8_utils_aot.py:0:20
	v_accvgpr_read_b32 v32, a122
	v_accvgpr_read_b32 v33, a123
	.loc	1 91 59 is_stmt 1               ; int8_utils_aot.py:91:59
	v_lshl_add_u64 v[32:33], s[4:5], 0, v[32:33]
	.loc	1 92 20                         ; int8_utils_aot.py:92:20
	global_load_ubyte v165, v[32:33], off
	.loc	1 92 51 is_stmt 0               ; int8_utils_aot.py:92:51
	s_cmp_ge_i32 s66, s14
	.loc	1 92 20                         ; int8_utils_aot.py:92:20
	s_cbranch_scc1 .LBB0_107
.LBB0_173:                              ;   in Loop: Header=BB0_4 Depth=1
	.loc	1 0 20                          ; int8_utils_aot.py:0:20
	v_accvgpr_read_b32 v32, a120
	v_accvgpr_read_b32 v33, a121
	.loc	1 91 59 is_stmt 1               ; int8_utils_aot.py:91:59
	v_lshl_add_u64 v[32:33], s[4:5], 0, v[32:33]
	.loc	1 92 20                         ; int8_utils_aot.py:92:20
	global_load_ubyte v166, v[32:33], off
	.loc	1 92 51 is_stmt 0               ; int8_utils_aot.py:92:51
	s_cmp_ge_i32 s67, s14
	.loc	1 92 20                         ; int8_utils_aot.py:92:20
	s_cbranch_scc1 .LBB0_108
.LBB0_174:                              ;   in Loop: Header=BB0_4 Depth=1
	.loc	1 0 20                          ; int8_utils_aot.py:0:20
	v_accvgpr_read_b32 v32, a118
	v_accvgpr_read_b32 v33, a119
	.loc	1 91 59 is_stmt 1               ; int8_utils_aot.py:91:59
	v_lshl_add_u64 v[32:33], s[4:5], 0, v[32:33]
	.loc	1 92 20                         ; int8_utils_aot.py:92:20
	global_load_ubyte v167, v[32:33], off
	.loc	1 92 51 is_stmt 0               ; int8_utils_aot.py:92:51
	s_cmp_ge_i32 s68, s14
	.loc	1 92 20                         ; int8_utils_aot.py:92:20
	s_cbranch_scc1 .LBB0_109
.LBB0_175:                              ;   in Loop: Header=BB0_4 Depth=1
	.loc	1 0 20                          ; int8_utils_aot.py:0:20
	v_accvgpr_read_b32 v32, a116
	v_accvgpr_read_b32 v33, a117
	.loc	1 91 59 is_stmt 1               ; int8_utils_aot.py:91:59
	v_lshl_add_u64 v[32:33], s[4:5], 0, v[32:33]
	.loc	1 92 20                         ; int8_utils_aot.py:92:20
	global_load_ubyte v168, v[32:33], off
	.loc	1 92 51 is_stmt 0               ; int8_utils_aot.py:92:51
	s_cmp_ge_i32 s69, s14
	.loc	1 92 20                         ; int8_utils_aot.py:92:20
	s_cbranch_scc1 .LBB0_110
.LBB0_176:                              ;   in Loop: Header=BB0_4 Depth=1
	.loc	1 0 20                          ; int8_utils_aot.py:0:20
	v_accvgpr_read_b32 v32, a114
	v_accvgpr_read_b32 v33, a115
	.loc	1 91 59 is_stmt 1               ; int8_utils_aot.py:91:59
	v_lshl_add_u64 v[32:33], s[4:5], 0, v[32:33]
	.loc	1 92 20                         ; int8_utils_aot.py:92:20
	global_load_ubyte v169, v[32:33], off
	.loc	1 92 51 is_stmt 0               ; int8_utils_aot.py:92:51
	s_cmp_ge_i32 s70, s14
	.loc	1 92 20                         ; int8_utils_aot.py:92:20
	s_cbranch_scc1 .LBB0_111
.LBB0_177:                              ;   in Loop: Header=BB0_4 Depth=1
	.loc	1 0 20                          ; int8_utils_aot.py:0:20
	v_accvgpr_read_b32 v32, a112
	v_accvgpr_read_b32 v33, a113
	.loc	1 91 59 is_stmt 1               ; int8_utils_aot.py:91:59
	v_lshl_add_u64 v[32:33], s[4:5], 0, v[32:33]
	.loc	1 92 20                         ; int8_utils_aot.py:92:20
	global_load_ubyte v170, v[32:33], off
	.loc	1 92 51 is_stmt 0               ; int8_utils_aot.py:92:51
	s_cmp_ge_i32 s71, s14
	.loc	1 92 20                         ; int8_utils_aot.py:92:20
	s_cbranch_scc1 .LBB0_112
.LBB0_178:                              ;   in Loop: Header=BB0_4 Depth=1
	.loc	1 0 20                          ; int8_utils_aot.py:0:20
	v_accvgpr_read_b32 v32, a110
	v_accvgpr_read_b32 v33, a111
	.loc	1 91 59 is_stmt 1               ; int8_utils_aot.py:91:59
	v_lshl_add_u64 v[32:33], s[4:5], 0, v[32:33]
	.loc	1 92 20                         ; int8_utils_aot.py:92:20
	global_load_ubyte v171, v[32:33], off
	.loc	1 92 51 is_stmt 0               ; int8_utils_aot.py:92:51
	s_cmp_ge_i32 s72, s14
	.loc	1 92 20                         ; int8_utils_aot.py:92:20
	s_cbranch_scc1 .LBB0_113
.LBB0_179:                              ;   in Loop: Header=BB0_4 Depth=1
	.loc	1 0 20                          ; int8_utils_aot.py:0:20
	v_accvgpr_read_b32 v32, a108
	v_accvgpr_read_b32 v33, a109
	.loc	1 91 59 is_stmt 1               ; int8_utils_aot.py:91:59
	v_lshl_add_u64 v[32:33], s[4:5], 0, v[32:33]
	.loc	1 92 20                         ; int8_utils_aot.py:92:20
	global_load_ubyte v172, v[32:33], off
	.loc	1 92 51 is_stmt 0               ; int8_utils_aot.py:92:51
	s_cmp_ge_i32 s73, s14
	.loc	1 92 20                         ; int8_utils_aot.py:92:20
	s_cbranch_scc1 .LBB0_114
.LBB0_180:                              ;   in Loop: Header=BB0_4 Depth=1
	.loc	1 0 20                          ; int8_utils_aot.py:0:20
	v_accvgpr_read_b32 v32, a106
	v_accvgpr_read_b32 v33, a107
	.loc	1 91 59 is_stmt 1               ; int8_utils_aot.py:91:59
	v_lshl_add_u64 v[32:33], s[4:5], 0, v[32:33]
	.loc	1 92 20                         ; int8_utils_aot.py:92:20
	global_load_ubyte v173, v[32:33], off
	.loc	1 92 51 is_stmt 0               ; int8_utils_aot.py:92:51
	s_cmp_ge_i32 s74, s14
	.loc	1 92 20                         ; int8_utils_aot.py:92:20
	s_cbranch_scc1 .LBB0_115
.LBB0_181:                              ;   in Loop: Header=BB0_4 Depth=1
	.loc	1 0 20                          ; int8_utils_aot.py:0:20
	v_accvgpr_read_b32 v32, a104
	v_accvgpr_read_b32 v33, a105
	.loc	1 91 59 is_stmt 1               ; int8_utils_aot.py:91:59
	v_lshl_add_u64 v[32:33], s[4:5], 0, v[32:33]
	.loc	1 92 20                         ; int8_utils_aot.py:92:20
	global_load_ubyte v174, v[32:33], off
	.loc	1 92 51 is_stmt 0               ; int8_utils_aot.py:92:51
	s_cmp_ge_i32 s75, s14
	.loc	1 92 20                         ; int8_utils_aot.py:92:20
	s_cbranch_scc1 .LBB0_116
.LBB0_182:                              ;   in Loop: Header=BB0_4 Depth=1
	.loc	1 0 20                          ; int8_utils_aot.py:0:20
	v_accvgpr_read_b32 v32, a102
	v_accvgpr_read_b32 v33, a103
	.loc	1 91 59 is_stmt 1               ; int8_utils_aot.py:91:59
	v_lshl_add_u64 v[32:33], s[4:5], 0, v[32:33]
	.loc	1 92 20                         ; int8_utils_aot.py:92:20
	global_load_ubyte v175, v[32:33], off
	.loc	1 92 51 is_stmt 0               ; int8_utils_aot.py:92:51
	s_cmp_ge_i32 s76, s14
	.loc	1 92 20                         ; int8_utils_aot.py:92:20
	s_cbranch_scc1 .LBB0_117
.LBB0_183:                              ;   in Loop: Header=BB0_4 Depth=1
	.loc	1 0 20                          ; int8_utils_aot.py:0:20
	v_accvgpr_read_b32 v32, a100
	v_accvgpr_read_b32 v33, a101
	.loc	1 91 59 is_stmt 1               ; int8_utils_aot.py:91:59
	v_lshl_add_u64 v[32:33], s[4:5], 0, v[32:33]
	.loc	1 92 20                         ; int8_utils_aot.py:92:20
	global_load_ubyte v176, v[32:33], off
	.loc	1 92 51 is_stmt 0               ; int8_utils_aot.py:92:51
	s_cmp_ge_i32 s77, s14
	.loc	1 92 20                         ; int8_utils_aot.py:92:20
	s_cbranch_scc1 .LBB0_118
.LBB0_184:                              ;   in Loop: Header=BB0_4 Depth=1
	.loc	1 0 20                          ; int8_utils_aot.py:0:20
	v_accvgpr_read_b32 v32, a98
	v_accvgpr_read_b32 v33, a99
	.loc	1 91 59 is_stmt 1               ; int8_utils_aot.py:91:59
	v_lshl_add_u64 v[32:33], s[4:5], 0, v[32:33]
	.loc	1 92 20                         ; int8_utils_aot.py:92:20
	global_load_ubyte v177, v[32:33], off
	.loc	1 92 51 is_stmt 0               ; int8_utils_aot.py:92:51
	s_cmp_ge_i32 s78, s14
	.loc	1 92 20                         ; int8_utils_aot.py:92:20
	s_cbranch_scc1 .LBB0_119
.LBB0_185:                              ;   in Loop: Header=BB0_4 Depth=1
	.loc	1 0 20                          ; int8_utils_aot.py:0:20
	v_accvgpr_read_b32 v32, a96
	v_accvgpr_read_b32 v33, a97
	.loc	1 91 59 is_stmt 1               ; int8_utils_aot.py:91:59
	v_lshl_add_u64 v[32:33], s[4:5], 0, v[32:33]
	.loc	1 92 20                         ; int8_utils_aot.py:92:20
	global_load_ubyte v178, v[32:33], off
	.loc	1 92 51 is_stmt 0               ; int8_utils_aot.py:92:51
	s_cmp_ge_i32 s79, s14
	.loc	1 92 20                         ; int8_utils_aot.py:92:20
	s_cbranch_scc1 .LBB0_120
.LBB0_186:                              ;   in Loop: Header=BB0_4 Depth=1
	.loc	1 0 20                          ; int8_utils_aot.py:0:20
	v_accvgpr_read_b32 v32, a94
	v_accvgpr_read_b32 v33, a95
	.loc	1 91 59 is_stmt 1               ; int8_utils_aot.py:91:59
	v_lshl_add_u64 v[32:33], s[4:5], 0, v[32:33]
	.loc	1 92 20                         ; int8_utils_aot.py:92:20
	global_load_ubyte v179, v[32:33], off
	.loc	1 92 51 is_stmt 0               ; int8_utils_aot.py:92:51
	s_cmp_ge_i32 s80, s14
	.loc	1 92 20                         ; int8_utils_aot.py:92:20
	s_cbranch_scc1 .LBB0_121
.LBB0_187:                              ;   in Loop: Header=BB0_4 Depth=1
	.loc	1 0 20                          ; int8_utils_aot.py:0:20
	v_accvgpr_read_b32 v32, a92
	v_accvgpr_read_b32 v33, a93
	.loc	1 91 59 is_stmt 1               ; int8_utils_aot.py:91:59
	v_lshl_add_u64 v[32:33], s[4:5], 0, v[32:33]
	.loc	1 92 20                         ; int8_utils_aot.py:92:20
	global_load_ubyte v180, v[32:33], off
	.loc	1 92 51 is_stmt 0               ; int8_utils_aot.py:92:51
	s_cmp_ge_i32 s81, s14
	.loc	1 92 20                         ; int8_utils_aot.py:92:20
	s_cbranch_scc1 .LBB0_122
.LBB0_188:                              ;   in Loop: Header=BB0_4 Depth=1
	.loc	1 0 20                          ; int8_utils_aot.py:0:20
	v_accvgpr_read_b32 v32, a90
	v_accvgpr_read_b32 v33, a91
	.loc	1 91 59 is_stmt 1               ; int8_utils_aot.py:91:59
	v_lshl_add_u64 v[32:33], s[4:5], 0, v[32:33]
	.loc	1 92 20                         ; int8_utils_aot.py:92:20
	global_load_ubyte v181, v[32:33], off
	.loc	1 92 51 is_stmt 0               ; int8_utils_aot.py:92:51
	s_cmp_ge_i32 s82, s14
	.loc	1 92 20                         ; int8_utils_aot.py:92:20
	s_cbranch_scc1 .LBB0_123
.LBB0_189:                              ;   in Loop: Header=BB0_4 Depth=1
	.loc	1 0 20                          ; int8_utils_aot.py:0:20
	v_accvgpr_read_b32 v32, a88
	v_accvgpr_read_b32 v33, a89
	.loc	1 91 59 is_stmt 1               ; int8_utils_aot.py:91:59
	v_lshl_add_u64 v[32:33], s[4:5], 0, v[32:33]
	.loc	1 92 20                         ; int8_utils_aot.py:92:20
	global_load_ubyte v182, v[32:33], off
	.loc	1 92 51 is_stmt 0               ; int8_utils_aot.py:92:51
	s_cmp_ge_i32 s83, s14
	.loc	1 92 20                         ; int8_utils_aot.py:92:20
	s_cbranch_scc1 .LBB0_124
.LBB0_190:                              ;   in Loop: Header=BB0_4 Depth=1
	.loc	1 0 20                          ; int8_utils_aot.py:0:20
	v_accvgpr_read_b32 v32, a86
	v_accvgpr_read_b32 v33, a87
	.loc	1 91 59 is_stmt 1               ; int8_utils_aot.py:91:59
	v_lshl_add_u64 v[32:33], s[4:5], 0, v[32:33]
	.loc	1 92 20                         ; int8_utils_aot.py:92:20
	global_load_ubyte v183, v[32:33], off
	.loc	1 92 51 is_stmt 0               ; int8_utils_aot.py:92:51
	s_cmp_ge_i32 s84, s14
	.loc	1 92 20                         ; int8_utils_aot.py:92:20
	s_cbranch_scc1 .LBB0_125
.LBB0_191:                              ;   in Loop: Header=BB0_4 Depth=1
	.loc	1 0 20                          ; int8_utils_aot.py:0:20
	v_accvgpr_read_b32 v32, a84
	v_accvgpr_read_b32 v33, a85
	.loc	1 91 59 is_stmt 1               ; int8_utils_aot.py:91:59
	v_lshl_add_u64 v[32:33], s[4:5], 0, v[32:33]
	.loc	1 92 20                         ; int8_utils_aot.py:92:20
	global_load_ubyte v184, v[32:33], off
	.loc	1 92 51 is_stmt 0               ; int8_utils_aot.py:92:51
	s_cmp_ge_i32 s85, s14
	.loc	1 92 20                         ; int8_utils_aot.py:92:20
	s_cbranch_scc1 .LBB0_126
.LBB0_192:                              ;   in Loop: Header=BB0_4 Depth=1
	.loc	1 0 20                          ; int8_utils_aot.py:0:20
	v_accvgpr_read_b32 v32, a82
	v_accvgpr_read_b32 v33, a83
	.loc	1 91 59 is_stmt 1               ; int8_utils_aot.py:91:59
	v_lshl_add_u64 v[32:33], s[4:5], 0, v[32:33]
	.loc	1 92 20                         ; int8_utils_aot.py:92:20
	global_load_ubyte v185, v[32:33], off
	.loc	1 92 51 is_stmt 0               ; int8_utils_aot.py:92:51
	s_cmp_ge_i32 s86, s14
	.loc	1 92 20                         ; int8_utils_aot.py:92:20
	s_cbranch_scc1 .LBB0_127
.LBB0_193:                              ;   in Loop: Header=BB0_4 Depth=1
	.loc	1 0 20                          ; int8_utils_aot.py:0:20
	v_accvgpr_read_b32 v32, a80
	v_accvgpr_read_b32 v33, a81
	.loc	1 91 59 is_stmt 1               ; int8_utils_aot.py:91:59
	v_lshl_add_u64 v[32:33], s[4:5], 0, v[32:33]
	.loc	1 92 20                         ; int8_utils_aot.py:92:20
	global_load_ubyte v186, v[32:33], off
	.loc	1 92 51 is_stmt 0               ; int8_utils_aot.py:92:51
	s_cmp_ge_i32 s87, s14
	.loc	1 92 20                         ; int8_utils_aot.py:92:20
	s_cbranch_scc1 .LBB0_128
.LBB0_194:                              ;   in Loop: Header=BB0_4 Depth=1
	.loc	1 0 20                          ; int8_utils_aot.py:0:20
	v_accvgpr_read_b32 v32, a78
	v_accvgpr_read_b32 v33, a79
	.loc	1 91 59 is_stmt 1               ; int8_utils_aot.py:91:59
	v_lshl_add_u64 v[32:33], s[4:5], 0, v[32:33]
	.loc	1 92 20                         ; int8_utils_aot.py:92:20
	global_load_ubyte v187, v[32:33], off
	.loc	1 92 51 is_stmt 0               ; int8_utils_aot.py:92:51
	s_cmp_ge_i32 s88, s14
	.loc	1 92 20                         ; int8_utils_aot.py:92:20
	s_cbranch_scc0 .LBB0_2
.LBB0_195:                              ;   in Loop: Header=BB0_4 Depth=1
	.loc	1 0 20                          ; int8_utils_aot.py:0:20
	v_mov_b32_e32 v188, 0
	.loc	1 92 20                         ; int8_utils_aot.py:92:20
	s_branch .LBB0_3
.LBB0_196:
	.loc	1 0 20                          ; int8_utils_aot.py:0:20
	v_mov_b32_e32 v34, 0
	v_mov_b32_e32 v35, 0
	v_mov_b32_e32 v36, 0
	v_mov_b32_e32 v37, 0
	v_mov_b32_e32 v38, 0
	v_mov_b32_e32 v39, 0
	v_mov_b32_e32 v40, 0
	v_mov_b32_e32 v41, 0
	v_mov_b32_e32 v42, 0
	v_mov_b32_e32 v30, 0
	v_mov_b32_e32 v26, 0
	v_mov_b32_e32 v22, 0
	v_mov_b32_e32 v18, 0
	v_mov_b32_e32 v14, 0
	v_mov_b32_e32 v10, 0
	v_mov_b32_e32 v4, 0
	s_branch .LBB0_198
.LBB0_197:                              ; %._crit_edge.loopexit
	.loc	1 106 27 is_stmt 1              ; int8_utils_aot.py:106:27
	v_cvt_f16_f32_e32 v0, v105
	v_cvt_f16_f32_e32 v1, v104
	v_cvt_f16_f32_e32 v2, v103
	v_cvt_f16_f32_e32 v3, v102
	v_cvt_f16_f32_e32 v4, v101
	v_cvt_f16_f32_e32 v5, v100
	v_cvt_f16_f32_e32 v6, v99
	v_cvt_f16_f32_e32 v7, v98
	v_pack_b32_f16 v10, v1, v0
	v_pack_b32_f16 v14, v3, v2
	v_pack_b32_f16 v18, v5, v4
	v_pack_b32_f16 v22, v7, v6
	v_cvt_f16_f32_e32 v0, v97
	v_cvt_f16_f32_e32 v1, v96
	v_cvt_f16_f32_e32 v2, v95
	v_cvt_f16_f32_e32 v3, v94
	v_cvt_f16_f32_e32 v4, v93
	v_cvt_f16_f32_e32 v5, v92
	v_cvt_f16_f32_e32 v6, v91
	v_cvt_f16_f32_e32 v7, v90
	v_pack_b32_f16 v26, v1, v0
	v_pack_b32_f16 v30, v3, v2
	v_pack_b32_f16 v42, v5, v4
	v_pack_b32_f16 v41, v7, v6
	;; [unrolled: 12-line block ×3, first 2 shown]
	v_cvt_f16_f32_e32 v0, v79
	v_cvt_f16_f32_e32 v1, v78
	;; [unrolled: 1-line block ×8, first 2 shown]
	v_readlane_b32 s48, v255, 0
	v_pack_b32_f16 v36, v1, v0
	v_pack_b32_f16 v35, v3, v2
	;; [unrolled: 1-line block ×4, first 2 shown]
	v_readlane_b32 s49, v255, 1
	v_accvgpr_read_b32 v43, a31
	v_accvgpr_read_b32 v44, a32
	;; [unrolled: 1-line block ×17, first 2 shown]
.LBB0_198:                              ; %Flow
	.loc	1 0 27 is_stmt 0                ; int8_utils_aot.py:0:27
	s_load_dwordx2 s[38:39], s[0:1], 0x4c
	.loc	1 113 33 is_stmt 1              ; int8_utils_aot.py:113:33
	v_cmp_gt_i32_e64 s[8:9], s12, v50
	.loc	1 113 58 is_stmt 0              ; int8_utils_aot.py:113:58
	v_cmp_gt_i32_e32 vcc, s13, v254
	.loc	1 113 39                        ; int8_utils_aot.py:113:39
	s_and_b64 s[2:3], s[8:9], vcc
	.loc	1 112 29 is_stmt 1              ; int8_utils_aot.py:112:29
	s_waitcnt lgkmcnt(0)
	v_mul_lo_u32 v0, v50, s38
	.loc	1 112 17 is_stmt 0              ; int8_utils_aot.py:112:17
	v_ashrrev_i32_e32 v1, 31, v0
	v_lshl_add_u64 v[6:7], v[0:1], 1, s[48:49]
	.loc	1 112 60                        ; int8_utils_aot.py:112:60
	v_mul_lo_u32 v0, v254, s39
	.loc	1 112 48                        ; int8_utils_aot.py:112:48
	v_ashrrev_i32_e32 v1, 31, v0
	.loc	1 114 21 is_stmt 1              ; int8_utils_aot.py:114:21
	s_and_saveexec_b64 s[0:1], s[2:3]
	s_cbranch_execz .LBB0_200
; %bb.199:
	.loc	1 0 21 is_stmt 0                ; int8_utils_aot.py:0:21
	v_lshl_add_u64 v[2:3], v[0:1], 1, v[6:7]
	.loc	1 114 21                        ; int8_utils_aot.py:114:21
	global_store_short v[2:3], v4, off
.LBB0_200:
	.loc	1 0 21                          ; int8_utils_aot.py:0:21
	s_or_b64 exec, exec, s[0:1]
	.loc	1 112 60 is_stmt 1              ; int8_utils_aot.py:112:60
	v_mul_lo_u32 v2, v49, s39
	.loc	1 113 58                        ; int8_utils_aot.py:113:58
	v_cmp_gt_i32_e64 s[0:1], s13, v49
	.loc	1 112 48                        ; int8_utils_aot.py:112:48
	v_ashrrev_i32_e32 v3, 31, v2
	.loc	1 113 39                        ; int8_utils_aot.py:113:39
	s_and_b64 s[4:5], s[8:9], s[0:1]
	.loc	1 114 21                        ; int8_utils_aot.py:114:21
	s_and_saveexec_b64 s[2:3], s[4:5]
	s_cbranch_execz .LBB0_202
; %bb.201:
	.loc	1 112 48                        ; int8_utils_aot.py:112:48
	v_lshl_add_u64 v[8:9], v[2:3], 1, v[6:7]
	.loc	1 114 21                        ; int8_utils_aot.py:114:21
	global_store_short_d16_hi v[8:9], v4, off
.LBB0_202:
	.loc	1 0 21 is_stmt 0                ; int8_utils_aot.py:0:21
	s_or_b64 exec, exec, s[2:3]
	.loc	1 112 60 is_stmt 1              ; int8_utils_aot.py:112:60
	v_mul_lo_u32 v4, v48, s39
	.loc	1 113 58                        ; int8_utils_aot.py:113:58
	v_cmp_gt_i32_e64 s[2:3], s13, v48
	.loc	1 112 48                        ; int8_utils_aot.py:112:48
	v_ashrrev_i32_e32 v5, 31, v4
	.loc	1 113 39                        ; int8_utils_aot.py:113:39
	s_and_b64 s[6:7], s[8:9], s[2:3]
	.loc	1 114 21                        ; int8_utils_aot.py:114:21
	s_and_saveexec_b64 s[4:5], s[6:7]
	s_cbranch_execz .LBB0_204
; %bb.203:
	.loc	1 112 48                        ; int8_utils_aot.py:112:48
	v_lshl_add_u64 v[8:9], v[4:5], 1, v[6:7]
	.loc	1 114 21                        ; int8_utils_aot.py:114:21
	global_store_short v[8:9], v10, off
.LBB0_204:
	.loc	1 0 21 is_stmt 0                ; int8_utils_aot.py:0:21
	s_or_b64 exec, exec, s[4:5]
	.loc	1 112 60 is_stmt 1              ; int8_utils_aot.py:112:60
	v_mul_lo_u32 v8, v47, s39
	.loc	1 113 58                        ; int8_utils_aot.py:113:58
	v_cmp_gt_i32_e64 s[4:5], s13, v47
	.loc	1 112 48                        ; int8_utils_aot.py:112:48
	v_ashrrev_i32_e32 v9, 31, v8
	.loc	1 113 39                        ; int8_utils_aot.py:113:39
	s_and_b64 s[6:7], s[8:9], s[4:5]
	.loc	1 114 21                        ; int8_utils_aot.py:114:21
	s_and_saveexec_b64 s[10:11], s[6:7]
	s_cbranch_execz .LBB0_206
; %bb.205:
	.loc	1 112 48                        ; int8_utils_aot.py:112:48
	v_lshl_add_u64 v[12:13], v[8:9], 1, v[6:7]
	.loc	1 114 21                        ; int8_utils_aot.py:114:21
	global_store_short_d16_hi v[12:13], v10, off
.LBB0_206:
	.loc	1 0 21 is_stmt 0                ; int8_utils_aot.py:0:21
	s_or_b64 exec, exec, s[10:11]
	.loc	1 112 60 is_stmt 1              ; int8_utils_aot.py:112:60
	v_mul_lo_u32 v10, v46, s39
	.loc	1 113 58                        ; int8_utils_aot.py:113:58
	v_cmp_gt_i32_e64 s[10:11], s13, v46
	.loc	1 112 48                        ; int8_utils_aot.py:112:48
	v_ashrrev_i32_e32 v11, 31, v10
	.loc	1 113 39                        ; int8_utils_aot.py:113:39
	s_and_b64 s[6:7], s[8:9], s[10:11]
	.loc	1 114 21                        ; int8_utils_aot.py:114:21
	s_and_saveexec_b64 s[14:15], s[6:7]
	s_cbranch_execz .LBB0_208
; %bb.207:
	.loc	1 112 48                        ; int8_utils_aot.py:112:48
	v_lshl_add_u64 v[12:13], v[10:11], 1, v[6:7]
	.loc	1 114 21                        ; int8_utils_aot.py:114:21
	global_store_short v[12:13], v14, off
.LBB0_208:
	.loc	1 0 21 is_stmt 0                ; int8_utils_aot.py:0:21
	;; [unrolled: 38-line block ×7, first 2 shown]
	s_or_b64 exec, exec, s[34:35]
	.loc	1 112 60 is_stmt 1              ; int8_utils_aot.py:112:60
	v_mul_lo_u32 v32, v44, s39
	.loc	1 113 58                        ; int8_utils_aot.py:113:58
	v_cmp_gt_i32_e64 s[34:35], s13, v44
	.loc	1 112 48                        ; int8_utils_aot.py:112:48
	v_ashrrev_i32_e32 v33, 31, v32
	.loc	1 113 39                        ; int8_utils_aot.py:113:39
	s_and_b64 s[6:7], s[8:9], s[34:35]
	.loc	1 114 21                        ; int8_utils_aot.py:114:21
	s_and_saveexec_b64 s[8:9], s[6:7]
	s_cbranch_execz .LBB0_230
; %bb.229:
	.loc	1 112 48                        ; int8_utils_aot.py:112:48
	v_lshl_add_u64 v[6:7], v[32:33], 1, v[6:7]
	.loc	1 114 21                        ; int8_utils_aot.py:114:21
	global_store_short_d16_hi v[6:7], v42, off
.LBB0_230:
	.loc	1 0 21 is_stmt 0                ; int8_utils_aot.py:0:21
	s_or_b64 exec, exec, s[8:9]
	.loc	1 112 29 is_stmt 1              ; int8_utils_aot.py:112:29
	v_mul_lo_u32 v6, s38, v43
	.loc	1 112 17 is_stmt 0              ; int8_utils_aot.py:112:17
	v_ashrrev_i32_e32 v7, 31, v6
	.loc	1 113 33 is_stmt 1              ; int8_utils_aot.py:113:33
	v_cmp_gt_i32_e64 s[6:7], s12, v43
	.loc	1 112 17                        ; int8_utils_aot.py:112:17
	v_lshl_add_u64 v[6:7], v[6:7], 1, s[48:49]
	.loc	1 113 39                        ; int8_utils_aot.py:113:39
	s_and_b64 s[12:13], s[6:7], vcc
	.loc	1 114 21                        ; int8_utils_aot.py:114:21
	s_and_saveexec_b64 s[8:9], s[12:13]
	s_cbranch_execnz .LBB0_247
; %bb.231:
	.loc	1 0 21 is_stmt 0                ; int8_utils_aot.py:0:21
	s_or_b64 exec, exec, s[8:9]
	.loc	1 113 39 is_stmt 1              ; int8_utils_aot.py:113:39
	s_and_b64 s[8:9], s[6:7], s[0:1]
	.loc	1 114 21                        ; int8_utils_aot.py:114:21
	s_and_saveexec_b64 s[0:1], s[8:9]
	s_cbranch_execnz .LBB0_248
.LBB0_232:
	.loc	1 0 21 is_stmt 0                ; int8_utils_aot.py:0:21
	s_or_b64 exec, exec, s[0:1]
	.loc	1 113 39 is_stmt 1              ; int8_utils_aot.py:113:39
	s_and_b64 s[2:3], s[6:7], s[2:3]
	.loc	1 114 21                        ; int8_utils_aot.py:114:21
	s_and_saveexec_b64 s[0:1], s[2:3]
	s_cbranch_execnz .LBB0_249
.LBB0_233:
	.loc	1 0 21 is_stmt 0                ; int8_utils_aot.py:0:21
	s_or_b64 exec, exec, s[0:1]
	.loc	1 113 39 is_stmt 1              ; int8_utils_aot.py:113:39
	s_and_b64 s[2:3], s[6:7], s[4:5]
	.loc	1 114 21                        ; int8_utils_aot.py:114:21
	s_and_saveexec_b64 s[0:1], s[2:3]
	s_cbranch_execnz .LBB0_250
.LBB0_234:
	.loc	1 0 21 is_stmt 0                ; int8_utils_aot.py:0:21
	s_or_b64 exec, exec, s[0:1]
	.loc	1 113 39 is_stmt 1              ; int8_utils_aot.py:113:39
	s_and_b64 s[2:3], s[6:7], s[10:11]
	.loc	1 114 21                        ; int8_utils_aot.py:114:21
	s_and_saveexec_b64 s[0:1], s[2:3]
	s_cbranch_execnz .LBB0_251
.LBB0_235:
	.loc	1 0 21 is_stmt 0                ; int8_utils_aot.py:0:21
	s_or_b64 exec, exec, s[0:1]
	.loc	1 113 39 is_stmt 1              ; int8_utils_aot.py:113:39
	s_and_b64 s[2:3], s[6:7], s[36:37]
	.loc	1 114 21                        ; int8_utils_aot.py:114:21
	s_and_saveexec_b64 s[0:1], s[2:3]
	s_cbranch_execnz .LBB0_252
.LBB0_236:
	.loc	1 0 21 is_stmt 0                ; int8_utils_aot.py:0:21
	s_or_b64 exec, exec, s[0:1]
	.loc	1 113 39 is_stmt 1              ; int8_utils_aot.py:113:39
	s_and_b64 s[2:3], s[6:7], s[14:15]
	.loc	1 114 21                        ; int8_utils_aot.py:114:21
	s_and_saveexec_b64 s[0:1], s[2:3]
	s_cbranch_execnz .LBB0_253
.LBB0_237:
	.loc	1 0 21 is_stmt 0                ; int8_utils_aot.py:0:21
	s_or_b64 exec, exec, s[0:1]
	.loc	1 113 39 is_stmt 1              ; int8_utils_aot.py:113:39
	s_and_b64 s[2:3], s[6:7], s[16:17]
	.loc	1 114 21                        ; int8_utils_aot.py:114:21
	s_and_saveexec_b64 s[0:1], s[2:3]
	s_cbranch_execnz .LBB0_254
.LBB0_238:
	.loc	1 0 21 is_stmt 0                ; int8_utils_aot.py:0:21
	s_or_b64 exec, exec, s[0:1]
	.loc	1 113 39 is_stmt 1              ; int8_utils_aot.py:113:39
	s_and_b64 s[2:3], s[6:7], s[18:19]
	.loc	1 114 21                        ; int8_utils_aot.py:114:21
	s_and_saveexec_b64 s[0:1], s[2:3]
	s_cbranch_execnz .LBB0_255
.LBB0_239:
	.loc	1 0 21 is_stmt 0                ; int8_utils_aot.py:0:21
	s_or_b64 exec, exec, s[0:1]
	.loc	1 113 39 is_stmt 1              ; int8_utils_aot.py:113:39
	s_and_b64 s[2:3], s[6:7], s[20:21]
	.loc	1 114 21                        ; int8_utils_aot.py:114:21
	s_and_saveexec_b64 s[0:1], s[2:3]
	s_cbranch_execnz .LBB0_256
.LBB0_240:
	.loc	1 0 21 is_stmt 0                ; int8_utils_aot.py:0:21
	s_or_b64 exec, exec, s[0:1]
	.loc	1 113 39 is_stmt 1              ; int8_utils_aot.py:113:39
	s_and_b64 s[2:3], s[6:7], s[22:23]
	.loc	1 114 21                        ; int8_utils_aot.py:114:21
	s_and_saveexec_b64 s[0:1], s[2:3]
	s_cbranch_execnz .LBB0_257
.LBB0_241:
	.loc	1 0 21 is_stmt 0                ; int8_utils_aot.py:0:21
	s_or_b64 exec, exec, s[0:1]
	.loc	1 113 39 is_stmt 1              ; int8_utils_aot.py:113:39
	s_and_b64 s[2:3], s[6:7], s[24:25]
	.loc	1 114 21                        ; int8_utils_aot.py:114:21
	s_and_saveexec_b64 s[0:1], s[2:3]
	s_cbranch_execnz .LBB0_258
.LBB0_242:
	.loc	1 0 21 is_stmt 0                ; int8_utils_aot.py:0:21
	s_or_b64 exec, exec, s[0:1]
	.loc	1 113 39 is_stmt 1              ; int8_utils_aot.py:113:39
	s_and_b64 s[2:3], s[6:7], s[26:27]
	.loc	1 114 21                        ; int8_utils_aot.py:114:21
	s_and_saveexec_b64 s[0:1], s[2:3]
	s_cbranch_execnz .LBB0_259
.LBB0_243:
	.loc	1 0 21 is_stmt 0                ; int8_utils_aot.py:0:21
	s_or_b64 exec, exec, s[0:1]
	.loc	1 113 39 is_stmt 1              ; int8_utils_aot.py:113:39
	s_and_b64 s[2:3], s[6:7], s[28:29]
	.loc	1 114 21                        ; int8_utils_aot.py:114:21
	s_and_saveexec_b64 s[0:1], s[2:3]
	s_cbranch_execnz .LBB0_260
.LBB0_244:
	.loc	1 0 21 is_stmt 0                ; int8_utils_aot.py:0:21
	s_or_b64 exec, exec, s[0:1]
	.loc	1 113 39 is_stmt 1              ; int8_utils_aot.py:113:39
	s_and_b64 s[2:3], s[6:7], s[30:31]
	.loc	1 114 21                        ; int8_utils_aot.py:114:21
	s_and_saveexec_b64 s[0:1], s[2:3]
	s_cbranch_execnz .LBB0_261
.LBB0_245:
	.loc	1 0 21 is_stmt 0                ; int8_utils_aot.py:0:21
	s_or_b64 exec, exec, s[0:1]
	.loc	1 113 39 is_stmt 1              ; int8_utils_aot.py:113:39
	s_and_b64 s[0:1], s[6:7], s[34:35]
	.loc	1 114 21                        ; int8_utils_aot.py:114:21
	s_and_saveexec_b64 s[2:3], s[0:1]
	s_cbranch_execnz .LBB0_262
.LBB0_246:
	.loc	1 114 4 is_stmt 0               ; int8_utils_aot.py:114:4
	s_endpgm
.LBB0_247:
	.loc	1 112 48 is_stmt 1              ; int8_utils_aot.py:112:48
	v_lshl_add_u64 v[0:1], v[0:1], 1, v[6:7]
	.loc	1 114 21                        ; int8_utils_aot.py:114:21
	global_store_short v[0:1], v41, off
	s_or_b64 exec, exec, s[8:9]
	.loc	1 113 39                        ; int8_utils_aot.py:113:39
	s_and_b64 s[8:9], s[6:7], s[0:1]
	.loc	1 114 21                        ; int8_utils_aot.py:114:21
	s_and_saveexec_b64 s[0:1], s[8:9]
	s_cbranch_execz .LBB0_232
.LBB0_248:
	.loc	1 112 48                        ; int8_utils_aot.py:112:48
	v_lshl_add_u64 v[0:1], v[2:3], 1, v[6:7]
	.loc	1 114 21                        ; int8_utils_aot.py:114:21
	global_store_short_d16_hi v[0:1], v41, off
	s_or_b64 exec, exec, s[0:1]
	.loc	1 113 39                        ; int8_utils_aot.py:113:39
	s_and_b64 s[2:3], s[6:7], s[2:3]
	.loc	1 114 21                        ; int8_utils_aot.py:114:21
	s_and_saveexec_b64 s[0:1], s[2:3]
	s_cbranch_execz .LBB0_233
.LBB0_249:
	.loc	1 112 48                        ; int8_utils_aot.py:112:48
	v_lshl_add_u64 v[0:1], v[4:5], 1, v[6:7]
	.loc	1 114 21                        ; int8_utils_aot.py:114:21
	global_store_short v[0:1], v40, off
	s_or_b64 exec, exec, s[0:1]
	.loc	1 113 39                        ; int8_utils_aot.py:113:39
	s_and_b64 s[2:3], s[6:7], s[4:5]
	.loc	1 114 21                        ; int8_utils_aot.py:114:21
	s_and_saveexec_b64 s[0:1], s[2:3]
	s_cbranch_execz .LBB0_234
.LBB0_250:
	.loc	1 112 48                        ; int8_utils_aot.py:112:48
	v_lshl_add_u64 v[0:1], v[8:9], 1, v[6:7]
	.loc	1 114 21                        ; int8_utils_aot.py:114:21
	global_store_short_d16_hi v[0:1], v40, off
	s_or_b64 exec, exec, s[0:1]
	.loc	1 113 39                        ; int8_utils_aot.py:113:39
	s_and_b64 s[2:3], s[6:7], s[10:11]
	.loc	1 114 21                        ; int8_utils_aot.py:114:21
	s_and_saveexec_b64 s[0:1], s[2:3]
	s_cbranch_execz .LBB0_235
.LBB0_251:
	.loc	1 112 48                        ; int8_utils_aot.py:112:48
	v_lshl_add_u64 v[0:1], v[10:11], 1, v[6:7]
	.loc	1 114 21                        ; int8_utils_aot.py:114:21
	global_store_short v[0:1], v39, off
	s_or_b64 exec, exec, s[0:1]
	.loc	1 113 39                        ; int8_utils_aot.py:113:39
	s_and_b64 s[2:3], s[6:7], s[36:37]
	.loc	1 114 21                        ; int8_utils_aot.py:114:21
	s_and_saveexec_b64 s[0:1], s[2:3]
	s_cbranch_execz .LBB0_236
.LBB0_252:
	.loc	1 112 48                        ; int8_utils_aot.py:112:48
	v_lshl_add_u64 v[0:1], v[12:13], 1, v[6:7]
	.loc	1 114 21                        ; int8_utils_aot.py:114:21
	global_store_short_d16_hi v[0:1], v39, off
	s_or_b64 exec, exec, s[0:1]
	.loc	1 113 39                        ; int8_utils_aot.py:113:39
	s_and_b64 s[2:3], s[6:7], s[14:15]
	.loc	1 114 21                        ; int8_utils_aot.py:114:21
	s_and_saveexec_b64 s[0:1], s[2:3]
	s_cbranch_execz .LBB0_237
.LBB0_253:
	.loc	1 112 48                        ; int8_utils_aot.py:112:48
	v_lshl_add_u64 v[0:1], v[14:15], 1, v[6:7]
	.loc	1 114 21                        ; int8_utils_aot.py:114:21
	global_store_short v[0:1], v38, off
	s_or_b64 exec, exec, s[0:1]
	.loc	1 113 39                        ; int8_utils_aot.py:113:39
	s_and_b64 s[2:3], s[6:7], s[16:17]
	.loc	1 114 21                        ; int8_utils_aot.py:114:21
	s_and_saveexec_b64 s[0:1], s[2:3]
	s_cbranch_execz .LBB0_238
.LBB0_254:
	.loc	1 112 48                        ; int8_utils_aot.py:112:48
	v_lshl_add_u64 v[0:1], v[16:17], 1, v[6:7]
	.loc	1 114 21                        ; int8_utils_aot.py:114:21
	global_store_short_d16_hi v[0:1], v38, off
	s_or_b64 exec, exec, s[0:1]
	.loc	1 113 39                        ; int8_utils_aot.py:113:39
	s_and_b64 s[2:3], s[6:7], s[18:19]
	.loc	1 114 21                        ; int8_utils_aot.py:114:21
	s_and_saveexec_b64 s[0:1], s[2:3]
	s_cbranch_execz .LBB0_239
.LBB0_255:
	.loc	1 112 48                        ; int8_utils_aot.py:112:48
	v_lshl_add_u64 v[0:1], v[18:19], 1, v[6:7]
	.loc	1 114 21                        ; int8_utils_aot.py:114:21
	global_store_short v[0:1], v37, off
	s_or_b64 exec, exec, s[0:1]
	.loc	1 113 39                        ; int8_utils_aot.py:113:39
	s_and_b64 s[2:3], s[6:7], s[20:21]
	.loc	1 114 21                        ; int8_utils_aot.py:114:21
	s_and_saveexec_b64 s[0:1], s[2:3]
	s_cbranch_execz .LBB0_240
.LBB0_256:
	.loc	1 112 48                        ; int8_utils_aot.py:112:48
	v_lshl_add_u64 v[0:1], v[20:21], 1, v[6:7]
	.loc	1 114 21                        ; int8_utils_aot.py:114:21
	global_store_short_d16_hi v[0:1], v37, off
	s_or_b64 exec, exec, s[0:1]
	.loc	1 113 39                        ; int8_utils_aot.py:113:39
	s_and_b64 s[2:3], s[6:7], s[22:23]
	.loc	1 114 21                        ; int8_utils_aot.py:114:21
	s_and_saveexec_b64 s[0:1], s[2:3]
	s_cbranch_execz .LBB0_241
.LBB0_257:
	.loc	1 112 48                        ; int8_utils_aot.py:112:48
	v_lshl_add_u64 v[0:1], v[22:23], 1, v[6:7]
	.loc	1 114 21                        ; int8_utils_aot.py:114:21
	global_store_short v[0:1], v36, off
	s_or_b64 exec, exec, s[0:1]
	.loc	1 113 39                        ; int8_utils_aot.py:113:39
	s_and_b64 s[2:3], s[6:7], s[24:25]
	.loc	1 114 21                        ; int8_utils_aot.py:114:21
	s_and_saveexec_b64 s[0:1], s[2:3]
	s_cbranch_execz .LBB0_242
.LBB0_258:
	.loc	1 112 48                        ; int8_utils_aot.py:112:48
	v_lshl_add_u64 v[0:1], v[24:25], 1, v[6:7]
	.loc	1 114 21                        ; int8_utils_aot.py:114:21
	global_store_short_d16_hi v[0:1], v36, off
	s_or_b64 exec, exec, s[0:1]
	.loc	1 113 39                        ; int8_utils_aot.py:113:39
	s_and_b64 s[2:3], s[6:7], s[26:27]
	.loc	1 114 21                        ; int8_utils_aot.py:114:21
	s_and_saveexec_b64 s[0:1], s[2:3]
	s_cbranch_execz .LBB0_243
.LBB0_259:
	.loc	1 112 48                        ; int8_utils_aot.py:112:48
	v_lshl_add_u64 v[0:1], v[26:27], 1, v[6:7]
	.loc	1 114 21                        ; int8_utils_aot.py:114:21
	global_store_short v[0:1], v35, off
	s_or_b64 exec, exec, s[0:1]
	.loc	1 113 39                        ; int8_utils_aot.py:113:39
	s_and_b64 s[2:3], s[6:7], s[28:29]
	.loc	1 114 21                        ; int8_utils_aot.py:114:21
	s_and_saveexec_b64 s[0:1], s[2:3]
	s_cbranch_execz .LBB0_244
.LBB0_260:
	.loc	1 112 48                        ; int8_utils_aot.py:112:48
	v_lshl_add_u64 v[0:1], v[28:29], 1, v[6:7]
	.loc	1 114 21                        ; int8_utils_aot.py:114:21
	global_store_short_d16_hi v[0:1], v35, off
	s_or_b64 exec, exec, s[0:1]
	.loc	1 113 39                        ; int8_utils_aot.py:113:39
	s_and_b64 s[2:3], s[6:7], s[30:31]
	.loc	1 114 21                        ; int8_utils_aot.py:114:21
	s_and_saveexec_b64 s[0:1], s[2:3]
	s_cbranch_execz .LBB0_245
.LBB0_261:
	.loc	1 112 48                        ; int8_utils_aot.py:112:48
	v_lshl_add_u64 v[0:1], v[30:31], 1, v[6:7]
	.loc	1 114 21                        ; int8_utils_aot.py:114:21
	global_store_short v[0:1], v34, off
	s_or_b64 exec, exec, s[0:1]
	.loc	1 113 39                        ; int8_utils_aot.py:113:39
	s_and_b64 s[0:1], s[6:7], s[34:35]
	.loc	1 114 21                        ; int8_utils_aot.py:114:21
	s_and_saveexec_b64 s[2:3], s[0:1]
	s_cbranch_execz .LBB0_246
.LBB0_262:
	.loc	1 112 48                        ; int8_utils_aot.py:112:48
	v_lshl_add_u64 v[0:1], v[32:33], 1, v[6:7]
	.loc	1 114 21                        ; int8_utils_aot.py:114:21
	global_store_short_d16_hi v[0:1], v34, off
	.loc	1 114 4 is_stmt 0               ; int8_utils_aot.py:114:4
	s_endpgm
.Ltmp19:
	.section	.rodata,"a",@progbits
	.p2align	6, 0x0
	.amdhsa_kernel _w8a8_block_int8_matmul
		.amdhsa_group_segment_fixed_size 0
		.amdhsa_private_segment_fixed_size 0
		.amdhsa_kernarg_size 120
		.amdhsa_user_sgpr_count 16
		.amdhsa_user_sgpr_dispatch_ptr 0
		.amdhsa_user_sgpr_queue_ptr 0
		.amdhsa_user_sgpr_kernarg_segment_ptr 1
		.amdhsa_user_sgpr_dispatch_id 0
		.amdhsa_user_sgpr_kernarg_preload_length 14
		.amdhsa_user_sgpr_kernarg_preload_offset 0
		.amdhsa_user_sgpr_private_segment_size 0
		.amdhsa_uses_dynamic_stack 0
		.amdhsa_enable_private_segment 0
		.amdhsa_system_sgpr_workgroup_id_x 1
		.amdhsa_system_sgpr_workgroup_id_y 0
		.amdhsa_system_sgpr_workgroup_id_z 0
		.amdhsa_system_sgpr_workgroup_info 0
		.amdhsa_system_vgpr_workitem_id 0
		.amdhsa_next_free_vgpr 458
		.amdhsa_next_free_sgpr 100
		.amdhsa_accum_offset 256
		.amdhsa_reserve_vcc 1
		.amdhsa_reserve_xnack_mask 1
		.amdhsa_float_round_mode_32 0
		.amdhsa_float_round_mode_16_64 0
		.amdhsa_float_denorm_mode_32 3
		.amdhsa_float_denorm_mode_16_64 3
		.amdhsa_dx10_clamp 1
		.amdhsa_ieee_mode 1
		.amdhsa_fp16_overflow 0
		.amdhsa_tg_split 0
		.amdhsa_exception_fp_ieee_invalid_op 0
		.amdhsa_exception_fp_denorm_src 0
		.amdhsa_exception_fp_ieee_div_zero 0
		.amdhsa_exception_fp_ieee_overflow 0
		.amdhsa_exception_fp_ieee_underflow 0
		.amdhsa_exception_fp_ieee_inexact 0
		.amdhsa_exception_int_div_zero 0
	.end_amdhsa_kernel
	.text
.Lfunc_end0:
	.size	_w8a8_block_int8_matmul, .Lfunc_end0-_w8a8_block_int8_matmul
	.cfi_endproc
                                        ; -- End function
	.set _w8a8_block_int8_matmul.num_vgpr, 256
	.set _w8a8_block_int8_matmul.num_agpr, 202
	.set _w8a8_block_int8_matmul.numbered_sgpr, 100
	.set _w8a8_block_int8_matmul.num_named_barrier, 0
	.set _w8a8_block_int8_matmul.private_seg_size, 0
	.set _w8a8_block_int8_matmul.uses_vcc, 1
	.set _w8a8_block_int8_matmul.uses_flat_scratch, 0
	.set _w8a8_block_int8_matmul.has_dyn_sized_stack, 0
	.set _w8a8_block_int8_matmul.has_recursion, 0
	.set _w8a8_block_int8_matmul.has_indirect_call, 0
	.section	.AMDGPU.csdata,"",@progbits
; Kernel info:
; codeLenInByte = 18316
; TotalNumSgprs: 106
; NumVgprs: 256
; NumAgprs: 202
; TotalNumVgprs: 458
; ScratchSize: 0
; MemoryBound: 0
; FloatMode: 240
; IeeeMode: 1
; LDSByteSize: 0 bytes/workgroup (compile time only)
; SGPRBlocks: 13
; VGPRBlocks: 57
; NumSGPRsForWavesPerEU: 106
; NumVGPRsForWavesPerEU: 458
; AccumOffset: 256
; Occupancy: 1
; WaveLimiterHint : 0
; COMPUTE_PGM_RSRC2:SCRATCH_EN: 0
; COMPUTE_PGM_RSRC2:USER_SGPR: 16
; COMPUTE_PGM_RSRC2:TRAP_HANDLER: 0
; COMPUTE_PGM_RSRC2:TGID_X_EN: 1
; COMPUTE_PGM_RSRC2:TGID_Y_EN: 0
; COMPUTE_PGM_RSRC2:TGID_Z_EN: 0
; COMPUTE_PGM_RSRC2:TIDIG_COMP_CNT: 0
; COMPUTE_PGM_RSRC3_GFX90A:ACCUM_OFFSET: 63
; COMPUTE_PGM_RSRC3_GFX90A:TG_SPLIT: 0
	.text
	.p2alignl 6, 3212836864
	.fill 256, 4, 3212836864
	.section	.AMDGPU.gpr_maximums,"",@progbits
	.set amdgpu.max_num_vgpr, 0
	.set amdgpu.max_num_agpr, 0
	.set amdgpu.max_num_sgpr, 0
	.set amdgpu.max_num_named_barrier, 0
	.text
	.section	.debug_abbrev,"",@progbits
	.byte	1                               ; Abbreviation Code
	.byte	17                              ; DW_TAG_compile_unit
	.byte	1                               ; DW_CHILDREN_yes
	.byte	37                              ; DW_AT_producer
	.byte	14                              ; DW_FORM_strp
	.byte	19                              ; DW_AT_language
	.byte	5                               ; DW_FORM_data2
	.byte	3                               ; DW_AT_name
	.byte	14                              ; DW_FORM_strp
	.byte	16                              ; DW_AT_stmt_list
	.byte	23                              ; DW_FORM_sec_offset
	.byte	27                              ; DW_AT_comp_dir
	.byte	14                              ; DW_FORM_strp
	.byte	17                              ; DW_AT_low_pc
	.byte	1                               ; DW_FORM_addr
	.byte	18                              ; DW_AT_high_pc
	.byte	6                               ; DW_FORM_data4
	.byte	0                               ; EOM(1)
	.byte	0                               ; EOM(2)
	.byte	2                               ; Abbreviation Code
	.byte	46                              ; DW_TAG_subprogram
	.byte	0                               ; DW_CHILDREN_no
	.byte	3                               ; DW_AT_name
	.byte	14                              ; DW_FORM_strp
	.byte	32                              ; DW_AT_inline
	.byte	11                              ; DW_FORM_data1
	.byte	0                               ; EOM(1)
	.byte	0                               ; EOM(2)
	.byte	3                               ; Abbreviation Code
	.byte	46                              ; DW_TAG_subprogram
	.byte	1                               ; DW_CHILDREN_yes
	.byte	17                              ; DW_AT_low_pc
	.byte	1                               ; DW_FORM_addr
	.byte	18                              ; DW_AT_high_pc
	.byte	6                               ; DW_FORM_data4
	.byte	49                              ; DW_AT_abstract_origin
	.byte	19                              ; DW_FORM_ref4
	.byte	0                               ; EOM(1)
	.byte	0                               ; EOM(2)
	.byte	4                               ; Abbreviation Code
	.byte	29                              ; DW_TAG_inlined_subroutine
	.byte	0                               ; DW_CHILDREN_no
	.byte	49                              ; DW_AT_abstract_origin
	.byte	19                              ; DW_FORM_ref4
	.byte	17                              ; DW_AT_low_pc
	.byte	1                               ; DW_FORM_addr
	.byte	18                              ; DW_AT_high_pc
	.byte	6                               ; DW_FORM_data4
	.byte	88                              ; DW_AT_call_file
	.byte	11                              ; DW_FORM_data1
	.byte	89                              ; DW_AT_call_line
	.byte	11                              ; DW_FORM_data1
	.byte	87                              ; DW_AT_call_column
	.byte	11                              ; DW_FORM_data1
	.byte	0                               ; EOM(1)
	.byte	0                               ; EOM(2)
	.byte	5                               ; Abbreviation Code
	.byte	29                              ; DW_TAG_inlined_subroutine
	.byte	0                               ; DW_CHILDREN_no
	.byte	49                              ; DW_AT_abstract_origin
	.byte	19                              ; DW_FORM_ref4
	.byte	85                              ; DW_AT_ranges
	.byte	23                              ; DW_FORM_sec_offset
	.byte	88                              ; DW_AT_call_file
	.byte	11                              ; DW_FORM_data1
	.byte	89                              ; DW_AT_call_line
	.byte	11                              ; DW_FORM_data1
	.byte	87                              ; DW_AT_call_column
	.byte	11                              ; DW_FORM_data1
	.byte	0                               ; EOM(1)
	.byte	0                               ; EOM(2)
	;; [unrolled: 1-line block ×3, first 2 shown]
	.section	.debug_info,"",@progbits
.Lcu_begin0:
	.long	.Ldebug_info_end0-.Ldebug_info_start0 ; Length of Unit
.Ldebug_info_start0:
	.short	4                               ; DWARF version number
	.long	.debug_abbrev                   ; Offset Into Abbrev. Section
	.byte	8                               ; Address Size (in bytes)
	.byte	1                               ; Abbrev [1] 0xb:0x64 DW_TAG_compile_unit
	.long	.Linfo_string0                  ; DW_AT_producer
	.short	2                               ; DW_AT_language
	.long	.Linfo_string1                  ; DW_AT_name
	.long	.Lline_table_start0             ; DW_AT_stmt_list
	.long	.Linfo_string2                  ; DW_AT_comp_dir
	.quad	.Lfunc_begin0                   ; DW_AT_low_pc
	.long	.Lfunc_end0-.Lfunc_begin0       ; DW_AT_high_pc
	.byte	2                               ; Abbrev [2] 0x2a:0x6 DW_TAG_subprogram
	.long	.Linfo_string3                  ; DW_AT_name
	.byte	1                               ; DW_AT_inline
	.byte	3                               ; Abbrev [3] 0x30:0x3e DW_TAG_subprogram
	.quad	.Lfunc_begin0                   ; DW_AT_low_pc
	.long	.Lfunc_end0-.Lfunc_begin0       ; DW_AT_high_pc
	.long	42                              ; DW_AT_abstract_origin
	.byte	4                               ; Abbrev [4] 0x41:0x14 DW_TAG_inlined_subroutine
	.long	42                              ; DW_AT_abstract_origin
	.quad	.Ltmp1                          ; DW_AT_low_pc
	.long	.Ltmp2-.Ltmp1                   ; DW_AT_high_pc
	.byte	1                               ; DW_AT_call_file
	.byte	71                              ; DW_AT_call_line
	.byte	27                              ; DW_AT_call_column
	.byte	5                               ; Abbrev [5] 0x55:0xc DW_TAG_inlined_subroutine
	.long	42                              ; DW_AT_abstract_origin
	.long	.Ldebug_ranges0                 ; DW_AT_ranges
	.byte	1                               ; DW_AT_call_file
	.byte	70                              ; DW_AT_call_line
	.byte	27                              ; DW_AT_call_column
	.byte	5                               ; Abbrev [5] 0x61:0xc DW_TAG_inlined_subroutine
	.long	42                              ; DW_AT_abstract_origin
	.long	.Ldebug_ranges1                 ; DW_AT_ranges
	.byte	1                               ; DW_AT_call_file
	.byte	90                              ; DW_AT_call_line
	.byte	33                              ; DW_AT_call_column
	.byte	0                               ; End Of Children Mark
	.byte	0                               ; End Of Children Mark
.Ldebug_info_end0:
	.section	.debug_ranges,"",@progbits
.Ldebug_ranges0:
	.quad	.Ltmp3-.Lfunc_begin0
	.quad	.Ltmp4-.Lfunc_begin0
	;; [unrolled: 1-line block ×8, first 2 shown]
	.quad	0
	.quad	0
.Ldebug_ranges1:
	.quad	.Ltmp11-.Lfunc_begin0
	.quad	.Ltmp12-.Lfunc_begin0
	;; [unrolled: 1-line block ×8, first 2 shown]
	.quad	0
	.quad	0
	.section	.debug_str,"MS",@progbits,1
.Linfo_string0:
	.asciz	"triton"                        ; string offset=0
.Linfo_string1:
	.asciz	"int8_utils_aot.py"             ; string offset=7
.Linfo_string2:
	.asciz	"/root/src/amdgpu-assembly/repos/vllm-project__vllm/triton_aot_kernels" ; string offset=25
.Linfo_string3:
	.asciz	"_w8a8_block_int8_matmul"       ; string offset=95
	.section	".note.GNU-stack","",@progbits
	.amdgpu_metadata
---
amdhsa.kernels:
  - .agpr_count:     202
    .args:
      - .address_space:  global
        .offset:         0
        .size:           8
        .value_kind:     global_buffer
      - .address_space:  global
        .offset:         8
        .size:           8
        .value_kind:     global_buffer
      - .address_space:  global
        .offset:         16
        .size:           8
        .value_kind:     global_buffer
      - .address_space:  global
        .offset:         24
        .size:           8
        .value_kind:     global_buffer
      - .address_space:  global
        .offset:         32
        .size:           8
        .value_kind:     global_buffer
      - .offset:         40
        .size:           4
        .value_kind:     by_value
      - .offset:         44
        .size:           4
        .value_kind:     by_value
      - .offset:         48
        .size:           4
        .value_kind:     by_value
      - .offset:         52
        .size:           4
        .value_kind:     by_value
      - .offset:         56
        .size:           4
        .value_kind:     by_value
      - .offset:         60
        .size:           4
        .value_kind:     by_value
      - .offset:         64
        .size:           4
        .value_kind:     by_value
      - .offset:         68
        .size:           4
        .value_kind:     by_value
      - .offset:         72
        .size:           4
        .value_kind:     by_value
      - .offset:         76
        .size:           4
        .value_kind:     by_value
      - .offset:         80
        .size:           4
        .value_kind:     by_value
      - .offset:         84
        .size:           4
        .value_kind:     by_value
      - .offset:         88
        .size:           4
        .value_kind:     by_value
      - .offset:         92
        .size:           4
        .value_kind:     by_value
      - .offset:         96
        .size:           4
        .value_kind:     by_value
      - .address_space:  global
        .offset:         104
        .size:           8
        .value_kind:     global_buffer
      - .address_space:  global
        .offset:         112
        .size:           8
        .value_kind:     global_buffer
    .group_segment_fixed_size: 0
    .kernarg_segment_align: 8
    .kernarg_segment_size: 120
    .max_flat_workgroup_size: 256
    .name:           _w8a8_block_int8_matmul
    .private_segment_fixed_size: 0
    .sgpr_count:     106
    .sgpr_spill_count: 23
    .symbol:         _w8a8_block_int8_matmul.kd
    .uniform_work_group_size: 1
    .uses_dynamic_stack: false
    .vgpr_count:     458
    .vgpr_spill_count: 0
    .wavefront_size: 64
amdhsa.target:   amdgcn-amd-amdhsa--gfx942
amdhsa.version:
  - 1
  - 2
...

	.end_amdgpu_metadata
	.section	.debug_line,"",@progbits
.Lline_table_start0:
